;; amdgpu-corpus repo=ROCm/aiter kind=harvested arch=n/a opt=n/a

/root/src/amdgpu-assembly/repos/ROCm__aiter/hsa/gfx950/fmoe/silu/fmoe_bf16_blockscaleFp8_g1u1_vs_silu_1tg_ps_64x128.co:	file format elf64-amdgpu

Disassembly of section .text:

0000000000002e00 <_ZN5aiter46fmoe_bf16_blockscaleFp8_g1u1_vs_ps_silu_64x128E>:
	v_lshrrev_b32_e32 v1, 10, v0                               // 000000002E00: 2002008A
	v_lshrrev_b32_e32 v2, 10, v1                               // 000000002E04: 2004028A
	v_and_b32_e32 v2, 0x3ff, v2                                // 000000002E08: 260404FF 000003FF
	v_and_b32_e32 v1, 0x3ff, v1                                // 000000002E10: 260202FF 000003FF
	v_and_b32_e32 v0, 0x3ff, v0                                // 000000002E18: 260000FF 000003FF
	v_lshrrev_b32_e32 v3, 6, v0                                // 000000002E20: 20060086
	v_and_b32_e32 v0, 63, v0                                   // 000000002E24: 260000BF
	s_mov_b32 s2, s2                                           // 000000002E28: BE820002
	s_mov_b32 s3, s3                                           // 000000002E2C: BE830003
	s_mov_b32 s4, s4                                           // 000000002E30: BE840004
	s_mov_b32 s100, s2                                         // 000000002E34: BEE40002
	v_readfirstlane_b32 s7, v3                                 // 000000002E38: 7E0E0503
	s_and_b32 s1, s1, 0xffff                                   // 000000002E3C: 8601FF01 0000FFFF
	s_mov_b32 s20, 0                                           // 000000002E44: BE940080
	s_mov_b32 s59, 0                                           // 000000002E48: BEBB0080
	s_mov_b32 s101, 0                                          // 000000002E4C: BEE50080
	s_load_dword s20, s[0:1], 0x1a0                            // 000000002E50: C0020500 000001A0
	s_load_dword s59, s[0:1], 0x1b0                            // 000000002E58: C0020EC0 000001B0
	s_waitcnt lgkmcnt(0)                                       // 000000002E60: BF8CC07F
	s_cmp_eq_u32 s20, 0                                        // 000000002E64: BF068014
	s_cbranch_scc1 label_0062                                  // 000000002E68: BF850047
	v_cvt_f32_u32_e32 v58, s59                                 // 000000002E6C: 7E740C3B
	s_sub_i32 s56, 0, s59                                      // 000000002E70: 81B83B80
	v_rcp_iflag_f32_e32 v58, v58                               // 000000002E74: 7E74473A
	s_nop 0                                                    // 000000002E78: BF800000
	v_mul_f32_e32 v58, 0x4f7ffffe, v58                         // 000000002E7C: 0A7474FF 4F7FFFFE
	v_cvt_u32_f32_e32 v58, v58                                 // 000000002E84: 7E740F3A
	v_mul_lo_u32 v59, s56, v58                                 // 000000002E88: D285003B 00027438
	v_mul_hi_u32 v59, v58, v59                                 // 000000002E90: D286003B 0002773A
	v_add_u32_e32 v58, v58, v59                                // 000000002E98: 6874773A
	v_mul_hi_u32 v58, s20, v58                                 // 000000002E9C: D286003A 00027414
	v_mul_lo_u32 v59, v58, s59                                 // 000000002EA4: D285003B 0000773A
	v_sub_u32_e32 v61, s20, v59                                // 000000002EAC: 6A7A7614
	v_add_u32_e32 v60, 1, v58                                  // 000000002EB0: 68787481
	v_cmp_le_u32_e32 vcc, s59, v61                             // 000000002EB4: 7D967A3B
	v_subrev_u32_e32 v59, s59, v61                             // 000000002EB8: 6C767A3B
	s_nop 0                                                    // 000000002EBC: BF800000
	v_cndmask_b32_e32 v58, v58, v60, vcc                       // 000000002EC0: 0074793A
	v_cndmask_b32_e32 v61, v61, v59, vcc                       // 000000002EC4: 007A773D
	v_add_u32_e32 v59, 1, v58                                  // 000000002EC8: 68767481
	v_cmp_le_u32_e32 vcc, s59, v61                             // 000000002ECC: 7D967A3B
	s_nop 1                                                    // 000000002ED0: BF800001
	v_cndmask_b32_e32 v61, v58, v59, vcc                       // 000000002ED4: 007A773A
	s_nop 3                                                    // 000000002ED8: BF800003
	v_readfirstlane_b32 s73, v61                               // 000000002EDC: 7E92053D
	s_nop 3                                                    // 000000002EE0: BF800003

0000000000002ee4 <label_0039>:
	s_mov_b32 s4, 1                                            // 000000002EE4: BE840081
	s_and_b32 s57, s100, 7                                     // 000000002EE8: 86398764
	s_lshr_b32 s58, s100, 3                                    // 000000002EEC: 8F3A8364
	s_mul_i32 s56, s73, s59                                    // 000000002EF0: 92383B49
	s_lshr_b32 s56, s56, 3                                     // 000000002EF4: 8F388338
	s_mul_i32 s57, s57, s56                                    // 000000002EF8: 92393839
	s_add_u32 s58, s57, s58                                    // 000000002EFC: 803A3A39
	v_cvt_f32_u32_e32 v58, s59                                 // 000000002F00: 7E740C3B
	s_sub_i32 s56, 0, s59                                      // 000000002F04: 81B83B80
	v_rcp_iflag_f32_e32 v58, v58                               // 000000002F08: 7E74473A
	s_nop 0                                                    // 000000002F0C: BF800000
	v_mul_f32_e32 v58, 0x4f7ffffe, v58                         // 000000002F10: 0A7474FF 4F7FFFFE
	v_cvt_u32_f32_e32 v58, v58                                 // 000000002F18: 7E740F3A
	v_mul_lo_u32 v59, s56, v58                                 // 000000002F1C: D285003B 00027438
	v_mul_hi_u32 v59, v58, v59                                 // 000000002F24: D286003B 0002773A
	v_add_u32_e32 v58, v58, v59                                // 000000002F2C: 6874773A
	v_mul_hi_u32 v58, s58, v58                                 // 000000002F30: D286003A 0002743A
	v_mul_lo_u32 v59, v58, s59                                 // 000000002F38: D285003B 0000773A
	v_sub_u32_e32 v61, s58, v59                                // 000000002F40: 6A7A763A
	v_add_u32_e32 v60, 1, v58                                  // 000000002F44: 68787481
	v_cmp_le_u32_e32 vcc, s59, v61                             // 000000002F48: 7D967A3B
	v_subrev_u32_e32 v59, s59, v61                             // 000000002F4C: 6C767A3B
	s_nop 0                                                    // 000000002F50: BF800000
	v_cndmask_b32_e32 v58, v58, v60, vcc                       // 000000002F54: 0074793A
	v_cndmask_b32_e32 v61, v61, v59, vcc                       // 000000002F58: 007A773D
	v_add_u32_e32 v59, 1, v58                                  // 000000002F5C: 68767481
	v_cmp_le_u32_e32 vcc, s59, v61                             // 000000002F60: 7D967A3B
	s_nop 1                                                    // 000000002F64: BF800001
	v_cndmask_b32_e32 v61, v58, v59, vcc                       // 000000002F68: 007A773A
	s_nop 3                                                    // 000000002F6C: BF800003
	v_readfirstlane_b32 s3, v61                                // 000000002F70: 7E06053D
	s_nop 3                                                    // 000000002F74: BF800003
	s_mul_i32 s56, s3, s59                                     // 000000002F78: 92383B03
	s_sub_u32 s2, s58, s56                                     // 000000002F7C: 8082383A
	s_mul_i32 s56, s73, s101                                   // 000000002F80: 92386549
	s_add_i32 s3, s3, s56                                      // 000000002F84: 81033803

0000000000002f88 <label_0062>:
	s_and_b32 s1, s1, 0xffff                                   // 000000002F88: 8601FF01 0000FFFF
	s_load_dwordx2 s[8:9], s[0:1], 0x0                         // 000000002F90: C0060200 00000000
	s_load_dwordx2 s[20:21], s[0:1], 0x10                      // 000000002F98: C0060500 00000010
	s_load_dwordx2 s[24:25], s[0:1], 0x20                      // 000000002FA0: C0060600 00000020
	s_load_dwordx2 s[50:51], s[0:1], 0x30                      // 000000002FA8: C0060C80 00000030
	s_load_dwordx2 s[12:13], s[0:1], 0x40                      // 000000002FB0: C0060300 00000040
	s_load_dwordx2 s[28:29], s[0:1], 0x50                      // 000000002FB8: C0060700 00000050
	s_load_dwordx2 s[32:33], s[0:1], 0x60                      // 000000002FC0: C0060800 00000060
	s_load_dwordx2 s[16:17], s[0:1], 0x70                      // 000000002FC8: C0060400 00000070
	s_load_dwordx2 s[36:37], s[0:1], 0x80                      // 000000002FD0: C0060900 00000080
	s_load_dwordx2 s[44:45], s[0:1], 0x90                      // 000000002FD8: C0060B00 00000090
	s_load_dwordx2 s[40:41], s[0:1], 0xa0                      // 000000002FE0: C0060A00 000000A0
	s_load_dwordx2 s[46:47], s[0:1], 0xb0                      // 000000002FE8: C0060B80 000000B0
	s_load_dword s60, s[0:1], 0xc0                             // 000000002FF0: C0020F00 000000C0
	s_load_dword s61, s[0:1], 0xd0                             // 000000002FF8: C0020F40 000000D0
	s_load_dword s63, s[0:1], 0xf0                             // 000000003000: C0020FC0 000000F0
	s_load_dword s64, s[0:1], 0x100                            // 000000003008: C0021000 00000100
	s_load_dword s65, s[0:1], 0x110                            // 000000003010: C0021040 00000110
	s_load_dword s66, s[0:1], 0x120                            // 000000003018: C0021080 00000120
	s_load_dword s67, s[0:1], 0x130                            // 000000003020: C00210C0 00000130
	s_load_dword s68, s[0:1], 0x140                            // 000000003028: C0021100 00000140
	s_load_dword s69, s[0:1], 0x150                            // 000000003030: C0021140 00000150
	s_load_dword s70, s[0:1], 0x160                            // 000000003038: C0021180 00000160
	s_load_dword s71, s[0:1], 0x170                            // 000000003040: C00211C0 00000170
	s_load_dword s72, s[0:1], 0x180                            // 000000003048: C0021200 00000180
	s_mov_b32 s2, s2                                           // 000000003050: BE820002
	s_mov_b32 s3, s3                                           // 000000003054: BE830003
	s_mov_b32 s4, s4                                           // 000000003058: BE840004
	s_waitcnt lgkmcnt(0)                                       // 00000000305C: BF8CC07F
	s_and_b32 s51, s51, 0xffff                                 // 000000003060: 8633FF33 0000FFFF
	s_load_dword s62, s[50:51], 0x4                            // 000000003068: C0020F99 00000004
	s_load_dword s50, s[50:51], 0x0                            // 000000003070: C0020C99 00000000
	s_waitcnt lgkmcnt(0)                                       // 000000003078: BF8CC07F
	s_and_b32 s45, s45, 0xffff                                 // 00000000307C: 862DFF2D 0000FFFF
	s_and_b32 s47, s47, 0xffff                                 // 000000003084: 862FFF2F 0000FFFF
	s_and_b32 s9, s9, 0xffff                                   // 00000000308C: 8609FF09 0000FFFF
	s_mul_i32 s56, s62, s64                                    // 000000003094: 9238403E
	s_mul_i32 s57, s62, 4                                      // 000000003098: 9239843E
	s_mov_b32 s22, s56                                         // 00000000309C: BE960038
	s_mov_b32 s26, -16                                         // 0000000030A0: BE9A00D0
	s_mov_b32 s14, -16                                         // 0000000030A4: BE8E00D0
	s_mov_b32 s42, -16                                         // 0000000030A8: BEAA00D0
	s_mov_b32 s30, -16                                         // 0000000030AC: BE9E00D0
	s_mov_b32 s34, -16                                         // 0000000030B0: BEA200D0
	s_mov_b32 s38, -16                                         // 0000000030B4: BEA600D0
	s_mov_b32 s18, -16                                         // 0000000030B8: BE9200D0
	s_mul_i32 s56, s62, s67                                    // 0000000030BC: 9238433E
	s_mov_b32 s10, s56                                         // 0000000030C0: BE8A0038
	s_mov_b32 s23, 0x20000                                     // 0000000030C4: BE9700FF 00020000
	s_mov_b32 s27, 0x20000                                     // 0000000030CC: BE9B00FF 00020000
	s_mov_b32 s15, 0x20000                                     // 0000000030D4: BE8F00FF 00020000
	s_mov_b32 s43, 0x20000                                     // 0000000030DC: BEAB00FF 00020000
	s_mov_b32 s31, 0x20000                                     // 0000000030E4: BE9F00FF 00020000
	s_mov_b32 s35, 0x20000                                     // 0000000030EC: BEA300FF 00020000
	s_mov_b32 s39, 0x20000                                     // 0000000030F4: BEA700FF 00020000
	s_mov_b32 s19, 0x20000                                     // 0000000030FC: BE9300FF 00020000
	s_mov_b32 s11, 0x20000                                     // 000000003104: BE8B00FF 00020000
	s_and_b32 s21, s21, 0xffff                                 // 00000000310C: 8615FF15 0000FFFF
	s_and_b32 s25, s25, 0xffff                                 // 000000003114: 8619FF19 0000FFFF
	s_and_b32 s13, s13, 0xffff                                 // 00000000311C: 860DFF0D 0000FFFF
	s_and_b32 s41, s41, 0xffff                                 // 000000003124: 8629FF29 0000FFFF
	s_and_b32 s29, s29, 0xffff                                 // 00000000312C: 861DFF1D 0000FFFF
	s_and_b32 s33, s33, 0xffff                                 // 000000003134: 8621FF21 0000FFFF
	s_and_b32 s37, s37, 0xffff                                 // 00000000313C: 8625FF25 0000FFFF
	s_and_b32 s17, s17, 0xffff                                 // 000000003144: 8611FF11 0000FFFF
	s_or_b32 s21, s21, 0x40000                                 // 00000000314C: 8715FF15 00040000
	s_or_b32 s25, s25, 0x40000                                 // 000000003154: 8719FF19 00040000
	s_or_b32 s13, s13, 0x40000                                 // 00000000315C: 870DFF0D 00040000
	s_or_b32 s41, s41, 0x40000                                 // 000000003164: 8729FF29 00040000
	s_or_b32 s29, s29, 0x40000                                 // 00000000316C: 871DFF1D 00040000
	s_or_b32 s33, s33, 0x40000                                 // 000000003174: 8721FF21 00040000
	s_or_b32 s37, s37, 0x40000                                 // 00000000317C: 8725FF25 00040000
	s_or_b32 s17, s17, 0x40000                                 // 000000003184: 8711FF11 00040000
	v_accvgpr_write_b32 a191, 0                                // 00000000318C: D3D940BF 18000080
	v_mov_b32_e32 v255, 0                                      // 000000003194: 7FFE0280
	s_waitcnt lgkmcnt(0)                                       // 000000003198: BF8CC07F
	s_mul_i32 s56, s3, 64                                      // 00000000319C: 9238C003
	s_cmp_lt_i32 s56, s50                                      // 0000000031A0: BF043238
	s_cbranch_scc0 label_1792                                  // 0000000031A4: BF8416A8
	s_mov_b32 s76, 0                                           // 0000000031A8: BECC0080
	s_mov_b32 s77, s60                                         // 0000000031AC: BECD003C
	s_mul_i32 s56, s3, 4                                       // 0000000031B0: 92388403
	s_add_u32 s46, s56, s46                                    // 0000000031B4: 802E2E38
	s_addc_u32 s47, 0, s47                                     // 0000000031B8: 822F2F80
	s_load_dword s5, s[46:47], 0x0                             // 0000000031BC: C0020157 00000000
	s_mul_i32 s56, s3, 64                                      // 0000000031C4: 9238C003
	s_mul_i32 s56, 4, s56                                      // 0000000031C8: 92383884
	v_and_b32_e32 v58, 15, v0                                  // 0000000031CC: 2674008F
	v_lshlrev_b32_e32 v58, 2, v58                              // 0000000031D0: 24747482
	v_add_u32_e32 v58, s56, v58                                // 0000000031D4: 68747438
	v_mov_b32_e32 v59, 0                                       // 0000000031D8: 7E760280
	global_load_dword v9, v58, s[44:45]                        // 0000000031DC: DC508000 092C003A
	v_add_u32_e32 v58, 64, v58                                 // 0000000031E4: 687474C0
	global_load_dword v10, v58, s[44:45]                       // 0000000031E8: DC508000 0A2C003A
	v_add_u32_e32 v58, 64, v58                                 // 0000000031F0: 687474C0
	global_load_dword v11, v58, s[44:45]                       // 0000000031F4: DC508000 0B2C003A
	v_add_u32_e32 v58, 64, v58                                 // 0000000031FC: 687474C0
	global_load_dword v12, v58, s[44:45]                       // 000000003200: DC508000 0C2C003A
	s_mul_i32 s56, s3, 64                                      // 000000003208: 9238C003
	s_lshr_b32 s57, s7, 1                                      // 00000000320C: 8F398107
	s_mul_i32 s57, s57, 8                                      // 000000003210: 92398839
	s_add_u32 s56, s57, s56                                    // 000000003214: 80383839
	s_and_b32 s57, s7, 1                                       // 000000003218: 86398107
	s_mul_i32 s57, s57, 2                                      // 00000000321C: 92398239
	s_add_u32 s56, s57, s56                                    // 000000003220: 80383839
	s_mul_i32 s56, 4, s56                                      // 000000003224: 92383884
	s_add_u32 s44, s56, s44                                    // 000000003228: 802C2C38
	s_addc_u32 s45, 0, s45                                     // 00000000322C: 822D2D80
	s_load_dword s78, s[44:45], 0x0                            // 000000003230: C0021396 00000000
	s_load_dword s79, s[44:45], 0x4                            // 000000003238: C00213D6 00000004
	s_load_dword s80, s[44:45], 0x10                           // 000000003240: C0021416 00000010
	s_load_dword s81, s[44:45], 0x14                           // 000000003248: C0021456 00000014
	s_load_dword s82, s[44:45], 0x40                           // 000000003250: C0021496 00000040
	s_load_dword s83, s[44:45], 0x44                           // 000000003258: C00214D6 00000044
	s_load_dword s84, s[44:45], 0x50                           // 000000003260: C0021516 00000050
	s_load_dword s85, s[44:45], 0x54                           // 000000003268: C0021556 00000054
	s_load_dword s86, s[44:45], 0x80                           // 000000003270: C0021596 00000080
	s_load_dword s87, s[44:45], 0x84                           // 000000003278: C00215D6 00000084
	s_load_dword s88, s[44:45], 0x90                           // 000000003280: C0021616 00000090
	s_load_dword s89, s[44:45], 0x94                           // 000000003288: C0021656 00000094
	s_load_dword s90, s[44:45], 0xc0                           // 000000003290: C0021696 000000C0
	s_load_dword s91, s[44:45], 0xc4                           // 000000003298: C00216D6 000000C4
	s_load_dword s92, s[44:45], 0xd0                           // 0000000032A0: C0021716 000000D0
	s_load_dword s93, s[44:45], 0xd4                           // 0000000032A8: C0021756 000000D4
	s_waitcnt lgkmcnt(0)                                       // 0000000032B0: BF8CC07F
	s_and_b32 s78, s78, 0xffffff                               // 0000000032B4: 864EFF4E 00FFFFFF
	s_mul_i32 s58, s78, s64                                    // 0000000032BC: 923A404E
	s_lshl_b32 s56, 0xff, 0                                    // 0000000032C0: 8E3880FF 000000FF
	s_mov_b32 s57, 0                                           // 0000000032C8: BEB90080
	s_mov_b64 exec, s[56:57]                                   // 0000000032CC: BEFE0138
	v_mov_b32_e32 v43, s58                                     // 0000000032D0: 7E56023A
	s_and_b32 s86, s86, 0xffffff                               // 0000000032D4: 8656FF56 00FFFFFF
	s_mul_i32 s58, s86, s64                                    // 0000000032DC: 923A4056
	v_mov_b32_e32 v45, s58                                     // 0000000032E0: 7E5A023A
	s_and_b32 s79, s79, 0xffffff                               // 0000000032E4: 864FFF4F 00FFFFFF
	s_mul_i32 s58, s79, s64                                    // 0000000032EC: 923A404F
	s_lshl_b32 s56, 0xff, 8                                    // 0000000032F0: 8E3888FF 000000FF
	s_mov_b64 exec, s[56:57]                                   // 0000000032F8: BEFE0138
	v_mov_b32_e32 v43, s58                                     // 0000000032FC: 7E56023A
	s_and_b32 s87, s87, 0xffffff                               // 000000003300: 8657FF57 00FFFFFF
	s_mul_i32 s58, s87, s64                                    // 000000003308: 923A4057
	v_mov_b32_e32 v45, s58                                     // 00000000330C: 7E5A023A
	s_and_b32 s80, s80, 0xffffff                               // 000000003310: 8650FF50 00FFFFFF
	s_mul_i32 s58, s80, s64                                    // 000000003318: 923A4050
	s_lshl_b32 s56, 0xff, 16                                   // 00000000331C: 8E3890FF 000000FF
	s_mov_b64 exec, s[56:57]                                   // 000000003324: BEFE0138
	v_mov_b32_e32 v43, s58                                     // 000000003328: 7E56023A
	s_and_b32 s88, s88, 0xffffff                               // 00000000332C: 8658FF58 00FFFFFF
	s_mul_i32 s58, s88, s64                                    // 000000003334: 923A4058
	v_mov_b32_e32 v45, s58                                     // 000000003338: 7E5A023A
	s_and_b32 s81, s81, 0xffffff                               // 00000000333C: 8651FF51 00FFFFFF
	s_mul_i32 s58, s81, s64                                    // 000000003344: 923A4051
	s_lshl_b32 s56, 0xff, 24                                   // 000000003348: 8E3898FF 000000FF
	s_mov_b64 exec, s[56:57]                                   // 000000003350: BEFE0138
	v_mov_b32_e32 v43, s58                                     // 000000003354: 7E56023A
	s_and_b32 s89, s89, 0xffffff                               // 000000003358: 8659FF59 00FFFFFF
	s_mul_i32 s58, s89, s64                                    // 000000003360: 923A4059
	v_mov_b32_e32 v45, s58                                     // 000000003364: 7E5A023A
	s_and_b32 s82, s82, 0xffffff                               // 000000003368: 8652FF52 00FFFFFF
	s_mul_i32 s58, s82, s64                                    // 000000003370: 923A4052
	s_lshl_b32 s57, 0xff, 0                                    // 000000003374: 8E3980FF 000000FF
	s_mov_b32 s56, 0                                           // 00000000337C: BEB80080
	s_mov_b64 exec, s[56:57]                                   // 000000003380: BEFE0138
	v_mov_b32_e32 v43, s58                                     // 000000003384: 7E56023A
	s_and_b32 s90, s90, 0xffffff                               // 000000003388: 865AFF5A 00FFFFFF
	s_mul_i32 s58, s90, s64                                    // 000000003390: 923A405A
	v_mov_b32_e32 v45, s58                                     // 000000003394: 7E5A023A
	s_and_b32 s83, s83, 0xffffff                               // 000000003398: 8653FF53 00FFFFFF
	s_mul_i32 s58, s83, s64                                    // 0000000033A0: 923A4053
	s_lshl_b32 s57, 0xff, 8                                    // 0000000033A4: 8E3988FF 000000FF
	s_mov_b64 exec, s[56:57]                                   // 0000000033AC: BEFE0138
	v_mov_b32_e32 v43, s58                                     // 0000000033B0: 7E56023A
	s_and_b32 s91, s91, 0xffffff                               // 0000000033B4: 865BFF5B 00FFFFFF
	s_mul_i32 s58, s91, s64                                    // 0000000033BC: 923A405B
	v_mov_b32_e32 v45, s58                                     // 0000000033C0: 7E5A023A
	s_and_b32 s84, s84, 0xffffff                               // 0000000033C4: 8654FF54 00FFFFFF
	s_mul_i32 s58, s84, s64                                    // 0000000033CC: 923A4054
	s_lshl_b32 s57, 0xff, 16                                   // 0000000033D0: 8E3990FF 000000FF
	s_mov_b64 exec, s[56:57]                                   // 0000000033D8: BEFE0138
	v_mov_b32_e32 v43, s58                                     // 0000000033DC: 7E56023A
	s_and_b32 s92, s92, 0xffffff                               // 0000000033E0: 865CFF5C 00FFFFFF
	s_mul_i32 s58, s92, s64                                    // 0000000033E8: 923A405C
	v_mov_b32_e32 v45, s58                                     // 0000000033EC: 7E5A023A
	s_and_b32 s85, s85, 0xffffff                               // 0000000033F0: 8655FF55 00FFFFFF
	s_mul_i32 s58, s85, s64                                    // 0000000033F8: 923A4055
	s_lshl_b32 s57, 0xff, 24                                   // 0000000033FC: 8E3998FF 000000FF
	s_mov_b64 exec, s[56:57]                                   // 000000003404: BEFE0138
	v_mov_b32_e32 v43, s58                                     // 000000003408: 7E56023A
	s_and_b32 s93, s93, 0xffffff                               // 00000000340C: 865DFF5D 00FFFFFF
	s_mul_i32 s58, s93, s64                                    // 000000003414: 923A405D
	v_mov_b32_e32 v45, s58                                     // 000000003418: 7E5A023A
	s_mov_b32 s56, -1                                          // 00000000341C: BEB800C1
	s_mov_b32 s57, -1                                          // 000000003420: BEB900C1
	s_mov_b64 exec, s[56:57]                                   // 000000003424: BEFE0138
	v_and_b32_e64 v58, v0, 7                                   // 000000003428: D113003A 00010F00
	v_lshlrev_b32_e32 v58, 4, v58                              // 000000003430: 24747484
	s_mov_b32 s58, 0x80                                        // 000000003434: BEBA00FF 00000080
	v_add_u32_e32 v43, v43, v58                                // 00000000343C: 6856752B
	v_add_u32_e64 v44, v43, s58                                // 000000003440: D134002C 0000752B
	v_add_u32_e32 v45, v45, v58                                // 000000003448: 685A752D
	v_add_u32_e64 v46, v45, s58                                // 00000000344C: D134002E 0000752D
	v_add_u32_e32 v47, v47, v58                                // 000000003454: 685E752F
	v_add_u32_e64 v48, v47, s58                                // 000000003458: D1340030 0000752F
	v_add_u32_e32 v49, v49, v58                                // 000000003460: 68627531
	v_add_u32_e64 v50, v49, s58                                // 000000003464: D1340032 00007531
	v_add_u32_e32 v51, v51, v58                                // 00000000346C: 68667533
	v_add_u32_e64 v52, v51, s58                                // 000000003470: D1340034 00007533
	v_add_u32_e32 v53, v53, v58                                // 000000003478: 686A7535
	v_add_u32_e64 v54, v53, s58                                // 00000000347C: D1340036 00007535
	v_add_u32_e32 v55, v55, v58                                // 000000003484: 686E7537
	v_add_u32_e64 v56, v55, s58                                // 000000003488: D1340038 00007537
	v_add_u32_e32 v57, v57, v58                                // 000000003490: 68727539
	v_add_u32_e64 v58, v57, s58                                // 000000003494: D134003A 00007539
	v_add_u32_e32 v59, v59, v58                                // 00000000349C: 6876753B
	v_add_u32_e64 v60, v59, s58                                // 0000000034A0: D134003C 0000753B
	v_add_u32_e32 v61, v61, v58                                // 0000000034A8: 687A753D
	v_add_u32_e64 v62, v61, s58                                // 0000000034AC: D134003E 0000753D
	v_add_u32_e32 v63, v63, v58                                // 0000000034B4: 687E753F
	v_add_u32_e64 v64, v63, s58                                // 0000000034B8: D1340040 0000753F
	v_add_u32_e32 v65, v65, v58                                // 0000000034C0: 68827541
	v_add_u32_e64 v66, v65, s58                                // 0000000034C4: D1340042 00007541
	v_add_u32_e32 v67, v67, v58                                // 0000000034CC: 68867543
	v_add_u32_e64 v68, v67, s58                                // 0000000034D0: D1340044 00007543
	v_add_u32_e32 v69, v69, v58                                // 0000000034D8: 688A7545
	v_add_u32_e64 v70, v69, s58                                // 0000000034DC: D1340046 00007545
	v_add_u32_e32 v71, v71, v58                                // 0000000034E4: 688E7547
	v_add_u32_e64 v72, v71, s58                                // 0000000034E8: D1340048 00007547
	v_add_u32_e32 v73, v73, v58                                // 0000000034F0: 68927549
	v_add_u32_e64 v74, v73, s58                                // 0000000034F4: D134004A 00007549
	v_add_u32_e32 v75, v75, v58                                // 0000000034FC: 6896754B
	v_add_u32_e64 v76, v75, s58                                // 000000003500: D134004C 0000754B
	v_add_u32_e32 v77, v77, v58                                // 000000003508: 689A754D
	v_add_u32_e64 v78, v77, s58                                // 00000000350C: D134004E 0000754D
	v_add_u32_e32 v79, v79, v58                                // 000000003514: 689E754F
	v_add_u32_e64 v80, v79, s58                                // 000000003518: D1340050 0000754F
	v_add_u32_e32 v81, v81, v58                                // 000000003520: 68A27551
	v_add_u32_e64 v82, v81, s58                                // 000000003524: D1340052 00007551
	v_add_u32_e32 v83, v83, v58                                // 00000000352C: 68A67553
	v_add_u32_e64 v84, v83, s58                                // 000000003530: D1340054 00007553
	v_add_u32_e32 v85, v85, v58                                // 000000003538: 68AA7555
	v_add_u32_e64 v86, v85, s58                                // 00000000353C: D1340056 00007555
	v_add_u32_e32 v87, v87, v58                                // 000000003544: 68AE7557
	v_add_u32_e64 v88, v87, s58                                // 000000003548: D1340058 00007557
	v_add_u32_e32 v89, v89, v58                                // 000000003550: 68B27559
	v_add_u32_e64 v90, v89, s58                                // 000000003554: D134005A 00007559
	v_add_u32_e32 v91, v91, v58                                // 00000000355C: 68B6755B
	v_add_u32_e64 v92, v91, s58                                // 000000003560: D134005C 0000755B
	v_add_u32_e32 v93, v93, v58                                // 000000003568: 68BA755D
	v_add_u32_e64 v94, v93, s58                                // 00000000356C: D134005E 0000755D
	v_add_u32_e32 v95, v95, v58                                // 000000003574: 68BE755F
	v_add_u32_e64 v96, v95, s58                                // 000000003578: D1340060 0000755F
	v_add_u32_e32 v97, v97, v58                                // 000000003580: 68C27561
	v_add_u32_e64 v98, v97, s58                                // 000000003584: D1340062 00007561
	v_add_u32_e32 v99, v99, v58                                // 00000000358C: 68C67563
	v_add_u32_e64 v100, v99, s58                               // 000000003590: D1340064 00007563
	v_add_u32_e32 v101, v101, v58                              // 000000003598: 68CA7565
	v_add_u32_e64 v102, v101, s58                              // 00000000359C: D1340066 00007565
	v_add_u32_e32 v103, v103, v58                              // 0000000035A4: 68CE7567
	v_add_u32_e64 v104, v103, s58                              // 0000000035A8: D1340068 00007567
	v_add_u32_e32 v105, v105, v58                              // 0000000035B0: 68D27569
	v_add_u32_e64 v106, v105, s58                              // 0000000035B4: D134006A 00007569
	v_lshlrev_b32_e32 v58, 2, v0                               // 0000000035BC: 24740082
	s_mul_i32 s56, s78, s67                                    // 0000000035C0: 9238434E
	v_add_u32_e64 v96, v58, s56                                // 0000000035C4: D1340060 0000713A
	v_mov_b32_e32 v97, 0                                       // 0000000035CC: 7EC20280
	s_mul_i32 s56, s79, s67                                    // 0000000035D0: 9238434F
	v_add_u32_e64 v98, v58, s56                                // 0000000035D4: D1340062 0000713A
	v_mov_b32_e32 v99, 0                                       // 0000000035DC: 7EC60280
	s_mul_i32 s56, s80, s67                                    // 0000000035E0: 92384350
	v_add_u32_e64 v100, v58, s56                               // 0000000035E4: D1340064 0000713A
	v_mov_b32_e32 v101, 0                                      // 0000000035EC: 7ECA0280
	s_mul_i32 s56, s81, s67                                    // 0000000035F0: 92384351
	v_add_u32_e64 v102, v58, s56                               // 0000000035F4: D1340066 0000713A
	v_mov_b32_e32 v103, 0                                      // 0000000035FC: 7ECE0280
	s_mul_i32 s56, s82, s67                                    // 000000003600: 92384352
	v_add_u32_e64 v104, v58, s56                               // 000000003604: D1340068 0000713A
	v_mov_b32_e32 v105, 0                                      // 00000000360C: 7ED20280
	s_mul_i32 s56, s83, s67                                    // 000000003610: 92384353
	v_add_u32_e64 v106, v58, s56                               // 000000003614: D134006A 0000713A
	v_mov_b32_e32 v107, 0                                      // 00000000361C: 7ED60280
	s_mul_i32 s56, s84, s67                                    // 000000003620: 92384354
	v_add_u32_e64 v108, v58, s56                               // 000000003624: D134006C 0000713A
	v_mov_b32_e32 v109, 0                                      // 00000000362C: 7EDA0280
	s_mul_i32 s56, s85, s67                                    // 000000003630: 92384355
	v_add_u32_e64 v110, v58, s56                               // 000000003634: D134006E 0000713A
	v_mov_b32_e32 v111, 0                                      // 00000000363C: 7EDE0280
	s_mul_i32 s56, s86, s67                                    // 000000003640: 92384356
	v_add_u32_e64 v112, v58, s56                               // 000000003644: D1340070 0000713A
	v_mov_b32_e32 v113, 0                                      // 00000000364C: 7EE20280
	s_mul_i32 s56, s87, s67                                    // 000000003650: 92384357
	v_add_u32_e64 v114, v58, s56                               // 000000003654: D1340072 0000713A
	v_mov_b32_e32 v115, 0                                      // 00000000365C: 7EE60280
	s_mul_i32 s56, s88, s67                                    // 000000003660: 92384358
	v_add_u32_e64 v116, v58, s56                               // 000000003664: D1340074 0000713A
	v_mov_b32_e32 v117, 0                                      // 00000000366C: 7EEA0280
	s_mul_i32 s56, s89, s67                                    // 000000003670: 92384359
	v_add_u32_e64 v118, v58, s56                               // 000000003674: D1340076 0000713A
	v_mov_b32_e32 v119, 0                                      // 00000000367C: 7EEE0280
	s_mul_i32 s56, s90, s67                                    // 000000003680: 9238435A
	v_add_u32_e64 v120, v58, s56                               // 000000003684: D1340078 0000713A
	v_mov_b32_e32 v121, 0                                      // 00000000368C: 7EF20280
	s_mul_i32 s56, s91, s67                                    // 000000003690: 9238435B
	v_add_u32_e64 v122, v58, s56                               // 000000003694: D134007A 0000713A
	v_mov_b32_e32 v123, 0                                      // 00000000369C: 7EF60280
	s_mul_i32 s56, s92, s67                                    // 0000000036A0: 9238435C
	v_add_u32_e64 v124, v58, s56                               // 0000000036A4: D134007C 0000713A
	v_mov_b32_e32 v125, 0                                      // 0000000036AC: 7EFA0280
	s_mul_i32 s56, s93, s67                                    // 0000000036B0: 9238435D
	v_add_u32_e64 v126, v58, s56                               // 0000000036B4: D134007E 0000713A
	v_mov_b32_e32 v127, 0                                      // 0000000036BC: 7EFE0280
	s_mul_i32 s56, s7, 0x420                                   // 0000000036C0: 9238FF07 00000420
	s_add_u32 s48, 0, s56                                      // 0000000036C8: 80303880
	s_add_u32 s49, 0x2500, s48                                 // 0000000036CC: 803130FF 00002500
	s_add_u32 s50, 0x4a00, s56                                 // 0000000036D4: 803238FF 00004A00
	s_add_u32 s51, 0x2500, s50                                 // 0000000036DC: 803332FF 00002500
	v_and_b32_e32 v58, 15, v0                                  // 0000000036E4: 2674008F
	v_lshrrev_b32_e32 v59, 3, v58                              // 0000000036E8: 20767483
	v_mul_lo_u32 v59, 2, v59                                   // 0000000036EC: D285003B 00027682
	v_and_b32_e32 v58, 3, v0                                   // 0000000036F4: 26740083
	v_lshrrev_b32_e32 v60, 1, v58                              // 0000000036F8: 20787481
	v_add_u32_e32 v58, v59, v60                                // 0000000036FC: 6874793B
	v_mul_i32_i24_e32 v2, 0x420, v58                           // 000000003700: 0C0474FF 00000420
	v_and_b32_e32 v58, 7, v0                                   // 000000003708: 26740087
	v_lshrrev_b32_e32 v59, 2, v58                              // 00000000370C: 20767482
	v_mul_i32_i24_e32 v59, 0x100, v59                          // 000000003710: 0C7676FF 00000100
	v_and_b32_e32 v58, 1, v0                                   // 000000003718: 26740081
	v_mul_i32_i24_e32 v60, 0x80, v58                           // 00000000371C: 0C7874FF 00000080
	v_add_u32_e32 v2, v59, v2                                  // 000000003724: 6804053B
	v_add_u32_e32 v2, v60, v2                                  // 000000003728: 6804053C
	v_lshrrev_b32_e32 v58, 4, v0                               // 00000000372C: 20740084
	v_mul_lo_u32 v58, 16, v58                                  // 000000003730: D285003A 00027490
	v_add_u32_e32 v2, v58, v2                                  // 000000003738: 6804053A
	s_mul_i32 s56, s2, 0x80                                    // 00000000373C: 9238FF02 00000080
	s_mul_i32 s56, s56, s65                                    // 000000003744: 92384138
	s_mul_i32 s57, s5, s68                                     // 000000003748: 92394405
	s_add_u32 s56, s57, s56                                    // 00000000374C: 80383839
	s_add_u32 s24, s56, s24                                    // 000000003750: 80181838
	s_addc_u32 s25, 0, s25                                     // 000000003754: 82191980
	s_mul_i32 s56, s7, 16                                      // 000000003758: 92389007
	s_mul_i32 s56, s56, s65                                    // 00000000375C: 92384138
	v_lshlrev_b32_e32 v47, 4, v0                               // 000000003760: 245E0084
	v_add_u32_e32 v47, s56, v47                                // 000000003764: 685E5E38
	s_mul_i32 s56, 64, s65                                     // 000000003768: 923841C0
	v_add_u32_e32 v48, s56, v47                                // 00000000376C: 68605E38
	s_mov_b32 s96, s24                                         // 000000003770: BEE00018
	s_mov_b32 s97, s25                                         // 000000003774: BEE10019
	s_mov_b32 s98, s26                                         // 000000003778: BEE2001A
	s_mov_b32 s99, s27                                         // 00000000377C: BEE3001B
	s_mul_i32 s56, s65, s61                                    // 000000003780: 92383D41
	s_add_u32 s96, s56, s96                                    // 000000003784: 80606038
	s_addc_u32 s97, 0, s97                                     // 000000003788: 82616180
	s_mul_i32 s56, s2, 0x800                                   // 00000000378C: 9238FF02 00000800
	s_mul_i32 s57, s5, s69                                     // 000000003794: 92394505
	s_add_u32 s56, s57, s56                                    // 000000003798: 80383839
	s_add_u32 s12, s56, s12                                    // 00000000379C: 800C0C38
	s_addc_u32 s13, 0, s13                                     // 0000000037A0: 820D0D80
	s_mul_i32 s56, s7, 16                                      // 0000000037A4: 92389007
	s_mul_i32 s56, s56, s66                                    // 0000000037A8: 92384238
	v_lshlrev_b32_e32 v49, 4, v0                               // 0000000037AC: 24620084
	v_add_u32_e32 v49, s56, v49                                // 0000000037B0: 68626238
	s_mul_i32 s56, 64, s66                                     // 0000000037B4: 923842C0
	v_add_u32_e32 v50, s56, v49                                // 0000000037B8: 68646238
	v_add_u32_e32 v51, s56, v50                                // 0000000037BC: 68666438
	v_add_u32_e32 v52, s56, v51                                // 0000000037C0: 68686638
	s_mul_i32 s56, s66, 0x100                                  // 0000000037C4: 9238FF42 00000100
	s_mov_b32 s74, 0x800                                       // 0000000037CC: BECA00FF 00000800
	s_mul_i32 s57, s74, 0                                      // 0000000037D4: 9239804A
	s_sub_u32 s52, s56, s57                                    // 0000000037D8: 80B43938
	s_mul_i32 s56, s3, 64                                      // 0000000037DC: 9238C003
	s_mul_i32 s56, 4, s56                                      // 0000000037E0: 92383884
	s_add_u32 s40, s56, s40                                    // 0000000037E4: 80282838
	s_addc_u32 s41, 0, s41                                     // 0000000037E8: 82292980
	v_and_b32_e32 v58, 15, v0                                  // 0000000037EC: 2674008F
	v_lshlrev_b32_e32 v13, 2, v58                              // 0000000037F0: 241A7482
	v_add_u32_e32 v14, 64, v13                                 // 0000000037F4: 681C1AC0
	v_add_u32_e32 v15, 64, v14                                 // 0000000037F8: 681E1CC0
	v_add_u32_e32 v16, 64, v15                                 // 0000000037FC: 68201EC0
	s_lshr_b32 s56, s60, 7                                     // 000000003800: 8F38873C
	s_mul_i32 s57, s56, 4                                      // 000000003804: 92398438
	v_and_b32_e64 v17, v0, 0                                   // 000000003808: D1130011 00010100
	v_mul_lo_u32 v17, v17, s57                                 // 000000003810: D2850011 00007311
	v_and_b32_e64 v58, v0, 3                                   // 000000003818: D113003A 00010700
	v_lshrrev_b32_e32 v58, 1, v58                              // 000000003820: 20747481
	v_mul_lo_u32 v58, 4, v58                                   // 000000003824: D285003A 00027484
	v_add_u32_e32 v17, v17, v58                                // 00000000382C: 68227511
	s_lshr_b32 s56, s61, 7                                     // 000000003830: 8F38873D
	s_mul_i32 s56, s56, s57                                    // 000000003834: 92383938
	v_add_u32_e64 v19, v17, s56                                // 000000003838: D1340013 00007111
	s_mov_b32 s4, 8                                            // 000000003840: BE840088
	s_mul_i32 s56, s2, 1                                       // 000000003844: 92388102
	s_mul_i32 s56, s56, s57                                    // 000000003848: 92383938
	s_mul_i32 s57, s5, s70                                     // 00000000384C: 92394605
	s_add_u32 s57, s57, s56                                    // 000000003850: 80393839
	s_add_u32 s32, s57, s32                                    // 000000003854: 80202039
	s_addc_u32 s33, 0, s33                                     // 000000003858: 82212180
	s_lshr_b32 s56, s61, 7                                     // 00000000385C: 8F38873D
	s_mul_i32 s57, s56, 4                                      // 000000003860: 92398438
	s_mul_i32 s56, s2, 1                                       // 000000003864: 92388102
	s_mul_i32 s56, s56, 4                                      // 000000003868: 92388438
	v_and_b32_e64 v8, v0, 1                                    // 00000000386C: D1130008 00010300
	v_mul_lo_u32 v8, v8, s57                                   // 000000003874: D2850008 00007308
	v_and_b32_e64 v58, v0, 1                                   // 00000000387C: D113003A 00010300
	v_lshrrev_b32_e32 v58, 1, v58                              // 000000003884: 20747481
	v_mul_lo_u32 v58, 4, v58                                   // 000000003888: D285003A 00027484
	v_add_i32 v8, v8, v58                                      // 000000003890: D29C0008 00027508
	v_add_i32 v8, v8, s56                                      // 000000003898: D29C0008 00007108
	s_mul_i32 s56, s5, s71                                     // 0000000038A0: 92384705
	s_add_u32 s16, s56, s16                                    // 0000000038A4: 80101038
	s_addc_u32 s17, 0, s17                                     // 0000000038A8: 82111180
	s_mov_b32 s53, 0x100                                       // 0000000038AC: BEB500FF 00000100
	s_mov_b32 s54, 0x1000                                      // 0000000038B4: BEB600FF 00001000
	s_mul_i32 s75, 2, s57                                      // 0000000038BC: 924B3982
	s_mov_b32 s55, 0x200                                       // 0000000038C0: BEB700FF 00000200
	s_mov_b32 s94, s54                                         // 0000000038C8: BEDE0036
	s_mov_b32 s6, 0x3fb8aa3b                                   // 0000000038CC: BE8600FF 3FB8AA3B
	s_mov_b32 m0, s48                                          // 0000000038D4: BEFC0030
	v_mov_b32_e32 v1, 0xbfcc4231                               // 0000000038D8: 7E0202FF BFCC4231
	v_mov_b32_e32 v54, 0xffff0000                              // 0000000038E0: 7E6C02FF FFFF0000
	v_mov_b32_e32 v55, 0x7fff0000                              // 0000000038E8: 7E6E02FF 7FFF0000
	v_mov_b32_e32 v56, 0x7fff                                  // 0000000038F0: 7E7002FF 00007FFF
	s_waitcnt vmcnt(0) expcnt(0) lgkmcnt(0)                    // 0000000038F8: BF8C0000
	v_and_b32_e32 v9, 0xffffff, v9                             // 0000000038FC: 261212FF 00FFFFFF
	v_lshlrev_b32_e32 v9, 2, v9                                // 000000003904: 24121282
	v_and_b32_e32 v10, 0xffffff, v10                           // 000000003908: 261414FF 00FFFFFF
	v_lshlrev_b32_e32 v10, 2, v10                              // 000000003910: 24141482
	v_and_b32_e32 v11, 0xffffff, v11                           // 000000003914: 261616FF 00FFFFFF
	v_lshlrev_b32_e32 v11, 2, v11                              // 00000000391C: 24161682
	v_and_b32_e32 v12, 0xffffff, v12                           // 000000003920: 261818FF 00FFFFFF
	v_lshlrev_b32_e32 v12, 2, v12                              // 000000003928: 24181882
	s_lshr_b32 s56, s7, 1                                      // 00000000392C: 8F388107
	s_lshl_b32 s3, s62, 2                                      // 000000003930: 8E03823E
	s_mul_i32 s56, s56, s3                                     // 000000003934: 92380338
	s_add_u32 s28, s28, s56                                    // 000000003938: 801C381C
	s_addc_u32 s29, 0, s29                                     // 00000000393C: 821D1D80
	s_mov_b32 s30, s3                                          // 000000003940: BE9E0003
	s_lshl_b32 s3, s3, 1                                       // 000000003944: 8E038103
	s_and_b32 s57, s7, 1                                       // 000000003948: 86398107
	s_cmp_eq_u32 s57, 1                                        // 00000000394C: BF068139
	s_cselect_b32 s56, 0, 1                                    // 000000003950: 85388180
	v_mul_lo_u32 v58, v9, s56                                  // 000000003954: D285003A 00007109
	v_mul_lo_u32 v59, v10, s57                                 // 00000000395C: D285003B 0000730A
	v_add_u32_e32 v58, v58, v59                                // 000000003964: 6874773A
	v_mov_b32_e32 v9, v58                                      // 000000003968: 7E12033A
	v_mul_lo_u32 v58, v11, s56                                 // 00000000396C: D285003A 0000710B
	v_mul_lo_u32 v59, v12, s57                                 // 000000003974: D285003B 0000730C
	v_add_u32_e32 v58, v58, v59                                // 00000000397C: 6874773A
	v_mov_b32_e32 v11, v58                                     // 000000003980: 7E16033A
	s_mul_i32 s56, s7, 0x100                                   // 000000003984: 9238FF07 00000100
	s_sub_u32 s57, 4, s7                                       // 00000000398C: 80B90784
	s_mul_i32 s57, s57, 0x420                                  // 000000003990: 9239FF39 00000420
	s_add_u32 s72, s56, s57                                    // 000000003998: 80483938
	v_lshlrev_b32_e32 v3, 2, v0                                // 00000000399C: 24060082
	buffer_load_dword v37, v17, s[32:35], 0 offen              // 0000000039A0: E0501000 80082511
	buffer_load_dword v39, v13, s[40:43], 0 offen              // 0000000039A8: E0501000 800A270D
	buffer_load_dword v40, v14, s[40:43], 0 offen              // 0000000039B0: E0501000 800A280E
	buffer_load_dword v41, v15, s[40:43], 0 offen              // 0000000039B8: E0501000 800A290F
	buffer_load_dword v42, v16, s[40:43], 0 offen              // 0000000039C0: E0501000 800A2A10
	buffer_load_dwordx4 v43, s[20:23], 0 offen lds             // 0000000039C8: E05D1000 8005002B
	s_add_u32 m0, 0x1080, s48                                  // 0000000039D0: 807C30FF 00001080
	buffer_load_dwordx4 v44, s[20:23], 0 offen lds             // 0000000039D8: E05D1000 8005002C
	s_add_u32 m0, 0, s50                                       // 0000000039E0: 807C3280
	buffer_load_dwordx4 v45, s[20:23], 0 offen lds             // 0000000039E4: E05D1000 8005002D
	s_add_u32 m0, 0x1080, s50                                  // 0000000039EC: 807C32FF 00001080
	buffer_load_dwordx4 v46, s[20:23], 0 offen lds             // 0000000039F4: E05D1000 8005002E
	s_add_u32 m0, 0x1080, s48                                  // 0000000039FC: 807C30FF 00001080
	s_add_u32 m0, m0, s72                                      // 000000003A04: 807C487C
	buffer_load_dword v9, s[28:31], 0 offen lds                // 000000003A08: E0511000 80070009
	s_add_u32 m0, m0, 0x4a00                                   // 000000003A10: 807CFF7C 00004A00
	buffer_load_dword v11, s[28:31], 0 offen lds               // 000000003A18: E0511000 8007000B
	s_add_u32 m0, 0, s49                                       // 000000003A20: 807C3180
	s_add_u32 s20, s53, s20                                    // 000000003A24: 80141435
	s_addc_u32 s21, 0, s21                                     // 000000003A28: 82151580
	s_add_u32 s28, s3, s28                                     // 000000003A2C: 801C1C03
	s_addc_u32 s29, 0, s29                                     // 000000003A30: 821D1D80
	buffer_load_dwordx4 a[0:3], v47, s[24:27], 0 offen         // 000000003A34: E05C1000 8086002F
	buffer_load_dwordx4 a[4:7], v47, s[24:27], 0 offen offset:1024// 000000003A3C: E05C1400 8086042F
	buffer_load_dwordx4 a[8:11], v48, s[24:27], 0 offen        // 000000003A44: E05C1000 80860830
	buffer_load_dwordx4 a[12:15], v48, s[24:27], 0 offen offset:1024// 000000003A4C: E05C1400 80860C30
	buffer_load_dwordx4 a[16:19], v47, s[24:27], 0 offen offset:2048// 000000003A54: E05C1800 8086102F
	buffer_load_dwordx4 a[20:23], v47, s[24:27], 0 offen offset:3072// 000000003A5C: E05C1C00 8086142F
	buffer_load_dwordx4 a[24:27], v48, s[24:27], 0 offen offset:2048// 000000003A64: E05C1800 80861830
	buffer_load_dwordx4 a[28:31], v48, s[24:27], 0 offen offset:3072// 000000003A6C: E05C1C00 80861C30
	s_add_u32 s24, s54, s24                                    // 000000003A74: 80181836
	s_addc_u32 s25, 0, s25                                     // 000000003A78: 82191980
	v_mov_b32_e32 v64, 0                                       // 000000003A7C: 7E800280
	v_mov_b32_e32 v96, 0                                       // 000000003A80: 7EC00280
	v_mov_b32_e32 v65, 0                                       // 000000003A84: 7E820280
	v_mov_b32_e32 v97, 0                                       // 000000003A88: 7EC20280
	v_mov_b32_e32 v66, 0                                       // 000000003A8C: 7E840280
	v_mov_b32_e32 v98, 0                                       // 000000003A90: 7EC40280
	v_mov_b32_e32 v67, 0                                       // 000000003A94: 7E860280
	v_mov_b32_e32 v99, 0                                       // 000000003A98: 7EC60280
	v_mov_b32_e32 v68, 0                                       // 000000003A9C: 7E880280
	v_mov_b32_e32 v100, 0                                      // 000000003AA0: 7EC80280
	v_mov_b32_e32 v69, 0                                       // 000000003AA4: 7E8A0280
	v_mov_b32_e32 v101, 0                                      // 000000003AA8: 7ECA0280
	v_mov_b32_e32 v70, 0                                       // 000000003AAC: 7E8C0280
	v_mov_b32_e32 v102, 0                                      // 000000003AB0: 7ECC0280
	v_mov_b32_e32 v71, 0                                       // 000000003AB4: 7E8E0280
	v_mov_b32_e32 v103, 0                                      // 000000003AB8: 7ECE0280
	v_mov_b32_e32 v72, 0                                       // 000000003ABC: 7E900280
	v_mov_b32_e32 v104, 0                                      // 000000003AC0: 7ED00280
	v_mov_b32_e32 v73, 0                                       // 000000003AC4: 7E920280
	v_mov_b32_e32 v105, 0                                      // 000000003AC8: 7ED20280
	v_mov_b32_e32 v74, 0                                       // 000000003ACC: 7E940280
	v_mov_b32_e32 v106, 0                                      // 000000003AD0: 7ED40280
	v_mov_b32_e32 v75, 0                                       // 000000003AD4: 7E960280
	v_mov_b32_e32 v107, 0                                      // 000000003AD8: 7ED60280
	v_mov_b32_e32 v76, 0                                       // 000000003ADC: 7E980280
	v_mov_b32_e32 v108, 0                                      // 000000003AE0: 7ED80280
	v_mov_b32_e32 v77, 0                                       // 000000003AE4: 7E9A0280
	v_mov_b32_e32 v109, 0                                      // 000000003AE8: 7EDA0280
	v_mov_b32_e32 v78, 0                                       // 000000003AEC: 7E9C0280
	v_mov_b32_e32 v110, 0                                      // 000000003AF0: 7EDC0280
	v_mov_b32_e32 v79, 0                                       // 000000003AF4: 7E9E0280
	v_mov_b32_e32 v111, 0                                      // 000000003AF8: 7EDE0280
	v_mov_b32_e32 v80, 0                                       // 000000003AFC: 7EA00280
	v_mov_b32_e32 v112, 0                                      // 000000003B00: 7EE00280
	v_mov_b32_e32 v81, 0                                       // 000000003B04: 7EA20280
	v_mov_b32_e32 v113, 0                                      // 000000003B08: 7EE20280
	v_mov_b32_e32 v82, 0                                       // 000000003B0C: 7EA40280
	v_mov_b32_e32 v114, 0                                      // 000000003B10: 7EE40280
	v_mov_b32_e32 v83, 0                                       // 000000003B14: 7EA60280
	v_mov_b32_e32 v115, 0                                      // 000000003B18: 7EE60280
	v_mov_b32_e32 v84, 0                                       // 000000003B1C: 7EA80280
	v_mov_b32_e32 v116, 0                                      // 000000003B20: 7EE80280
	v_mov_b32_e32 v85, 0                                       // 000000003B24: 7EAA0280
	v_mov_b32_e32 v117, 0                                      // 000000003B28: 7EEA0280
	v_mov_b32_e32 v86, 0                                       // 000000003B2C: 7EAC0280
	v_mov_b32_e32 v118, 0                                      // 000000003B30: 7EEC0280
	v_mov_b32_e32 v87, 0                                       // 000000003B34: 7EAE0280
	v_mov_b32_e32 v119, 0                                      // 000000003B38: 7EEE0280
	v_mov_b32_e32 v88, 0                                       // 000000003B3C: 7EB00280
	v_mov_b32_e32 v120, 0                                      // 000000003B40: 7EF00280
	v_mov_b32_e32 v89, 0                                       // 000000003B44: 7EB20280
	v_mov_b32_e32 v121, 0                                      // 000000003B48: 7EF20280
	v_mov_b32_e32 v90, 0                                       // 000000003B4C: 7EB40280
	v_mov_b32_e32 v122, 0                                      // 000000003B50: 7EF40280
	v_mov_b32_e32 v91, 0                                       // 000000003B54: 7EB60280
	v_mov_b32_e32 v123, 0                                      // 000000003B58: 7EF60280
	v_mov_b32_e32 v92, 0                                       // 000000003B5C: 7EB80280
	v_mov_b32_e32 v124, 0                                      // 000000003B60: 7EF80280
	v_mov_b32_e32 v93, 0                                       // 000000003B64: 7EBA0280
	v_mov_b32_e32 v125, 0                                      // 000000003B68: 7EFA0280
	v_mov_b32_e32 v94, 0                                       // 000000003B6C: 7EBC0280
	v_mov_b32_e32 v126, 0                                      // 000000003B70: 7EFC0280
	v_mov_b32_e32 v95, 0                                       // 000000003B74: 7EBE0280
	v_mov_b32_e32 v127, 0                                      // 000000003B78: 7EFE0280
	v_mov_b32_e32 v96, 0                                       // 000000003B7C: 7EC00280
	v_mov_b32_e32 v128, 0                                      // 000000003B80: 7F000280
	v_mov_b32_e32 v97, 0                                       // 000000003B84: 7EC20280
	v_mov_b32_e32 v129, 0                                      // 000000003B88: 7F020280
	v_mov_b32_e32 v98, 0                                       // 000000003B8C: 7EC40280
	v_mov_b32_e32 v130, 0                                      // 000000003B90: 7F040280
	v_mov_b32_e32 v99, 0                                       // 000000003B94: 7EC60280
	v_mov_b32_e32 v131, 0                                      // 000000003B98: 7F060280
	v_mov_b32_e32 v100, 0                                      // 000000003B9C: 7EC80280
	v_mov_b32_e32 v132, 0                                      // 000000003BA0: 7F080280
	v_mov_b32_e32 v101, 0                                      // 000000003BA4: 7ECA0280
	v_mov_b32_e32 v133, 0                                      // 000000003BA8: 7F0A0280
	v_mov_b32_e32 v102, 0                                      // 000000003BAC: 7ECC0280
	v_mov_b32_e32 v134, 0                                      // 000000003BB0: 7F0C0280
	v_mov_b32_e32 v103, 0                                      // 000000003BB4: 7ECE0280
	v_mov_b32_e32 v135, 0                                      // 000000003BB8: 7F0E0280
	v_mov_b32_e32 v104, 0                                      // 000000003BBC: 7ED00280
	v_mov_b32_e32 v136, 0                                      // 000000003BC0: 7F100280
	v_mov_b32_e32 v105, 0                                      // 000000003BC4: 7ED20280
	v_mov_b32_e32 v137, 0                                      // 000000003BC8: 7F120280
	v_mov_b32_e32 v106, 0                                      // 000000003BCC: 7ED40280
	v_mov_b32_e32 v138, 0                                      // 000000003BD0: 7F140280
	v_mov_b32_e32 v107, 0                                      // 000000003BD4: 7ED60280
	v_mov_b32_e32 v139, 0                                      // 000000003BD8: 7F160280
	v_mov_b32_e32 v108, 0                                      // 000000003BDC: 7ED80280
	v_mov_b32_e32 v140, 0                                      // 000000003BE0: 7F180280
	v_mov_b32_e32 v109, 0                                      // 000000003BE4: 7EDA0280
	v_mov_b32_e32 v141, 0                                      // 000000003BE8: 7F1A0280
	v_mov_b32_e32 v110, 0                                      // 000000003BEC: 7EDC0280
	v_mov_b32_e32 v142, 0                                      // 000000003BF0: 7F1C0280
	v_mov_b32_e32 v111, 0                                      // 000000003BF4: 7EDE0280
	v_mov_b32_e32 v143, 0                                      // 000000003BF8: 7F1E0280
	v_mov_b32_e32 v112, 0                                      // 000000003BFC: 7EE00280
	v_mov_b32_e32 v144, 0                                      // 000000003C00: 7F200280
	v_mov_b32_e32 v113, 0                                      // 000000003C04: 7EE20280
	v_mov_b32_e32 v145, 0                                      // 000000003C08: 7F220280
	v_mov_b32_e32 v114, 0                                      // 000000003C0C: 7EE40280
	v_mov_b32_e32 v146, 0                                      // 000000003C10: 7F240280
	v_mov_b32_e32 v115, 0                                      // 000000003C14: 7EE60280
	v_mov_b32_e32 v147, 0                                      // 000000003C18: 7F260280
	v_mov_b32_e32 v116, 0                                      // 000000003C1C: 7EE80280
	v_mov_b32_e32 v148, 0                                      // 000000003C20: 7F280280
	v_mov_b32_e32 v117, 0                                      // 000000003C24: 7EEA0280
	v_mov_b32_e32 v149, 0                                      // 000000003C28: 7F2A0280
	v_mov_b32_e32 v118, 0                                      // 000000003C2C: 7EEC0280
	v_mov_b32_e32 v150, 0                                      // 000000003C30: 7F2C0280
	v_mov_b32_e32 v119, 0                                      // 000000003C34: 7EEE0280
	v_mov_b32_e32 v151, 0                                      // 000000003C38: 7F2E0280
	v_mov_b32_e32 v120, 0                                      // 000000003C3C: 7EF00280
	v_mov_b32_e32 v152, 0                                      // 000000003C40: 7F300280
	v_mov_b32_e32 v121, 0                                      // 000000003C44: 7EF20280
	v_mov_b32_e32 v153, 0                                      // 000000003C48: 7F320280
	v_mov_b32_e32 v122, 0                                      // 000000003C4C: 7EF40280
	v_mov_b32_e32 v154, 0                                      // 000000003C50: 7F340280
	v_mov_b32_e32 v123, 0                                      // 000000003C54: 7EF60280
	v_mov_b32_e32 v155, 0                                      // 000000003C58: 7F360280
	v_mov_b32_e32 v124, 0                                      // 000000003C5C: 7EF80280
	v_mov_b32_e32 v156, 0                                      // 000000003C60: 7F380280
	v_mov_b32_e32 v125, 0                                      // 000000003C64: 7EFA0280
	v_mov_b32_e32 v157, 0                                      // 000000003C68: 7F3A0280
	v_mov_b32_e32 v126, 0                                      // 000000003C6C: 7EFC0280
	v_mov_b32_e32 v158, 0                                      // 000000003C70: 7F3C0280
	v_mov_b32_e32 v127, 0                                      // 000000003C74: 7EFE0280
	v_mov_b32_e32 v159, 0                                      // 000000003C78: 7F3E0280
	v_lshrrev_b32_e32 v58, 4, v0                               // 000000003C7C: 20740084
	v_mul_lo_u32 v4, 34, v58                                   // 000000003C80: D2850004 000274A2
	v_and_b32_e32 v58, 15, v0                                  // 000000003C88: 2674008F
	v_mul_lo_u32 v59, 2, v58                                   // 000000003C8C: D285003B 00027482
	v_add_u32_e32 v4, v59, v4                                  // 000000003C94: 6808093B
	s_mul_i32 s56, s7, 0x88                                    // 000000003C98: 9238FF07 00000088
	v_add_u32_e32 v4, s56, v4                                  // 000000003CA0: 68080838
	v_mov_b32_e32 v5, v4                                       // 000000003CA4: 7E0A0304
	v_mov_b32_e32 v58, 0                                       // 000000003CA8: 7E740280
	v_mov_b32_e32 v59, 0x1280                                  // 000000003CAC: 7E7602FF 00001280
	v_add_u32_e32 v4, v4, v58                                  // 000000003CB4: 68087504
	v_add_u32_e32 v5, v5, v59                                  // 000000003CB8: 680A7705
	v_lshlrev_b32_e32 v4, 2, v4                                // 000000003CBC: 24080882
	v_lshlrev_b32_e32 v5, 2, v5                                // 000000003CC0: 240A0A82
	v_lshrrev_b32_e32 v58, 1, v0                               // 000000003CC4: 20740081
	v_mul_lo_u32 v6, 34, v58                                   // 000000003CC8: D2850006 000274A2
	v_and_b32_e32 v59, 1, v0                                   // 000000003CD0: 26760081
	v_add_u32_e32 v6, v59, v6                                  // 000000003CD4: 680C0D3B
	s_mov_b32 s56, 0                                           // 000000003CD8: BEB80080
	s_lshr_b32 s57, s7, 1                                      // 000000003CDC: 8F398107
	s_mul_i32 s57, s57, 8                                      // 000000003CE0: 92398839
	s_add_u32 s56, s57, s56                                    // 000000003CE4: 80383839
	s_and_b32 s57, s7, 1                                       // 000000003CE8: 86398107
	s_mul_i32 s57, s57, 2                                      // 000000003CEC: 92398239
	s_add_u32 s56, s57, s56                                    // 000000003CF0: 80383839
	s_mul_i32 s56, 2, s56                                      // 000000003CF4: 92383882
	v_add_u32_e32 v6, s56, v6                                  // 000000003CF8: 680C0C38
	v_mov_b32_e32 v7, v6                                       // 000000003CFC: 7E0E0306
	v_mov_b32_e32 v58, 0                                       // 000000003D00: 7E740280
	v_mov_b32_e32 v59, 0x1280                                  // 000000003D04: 7E7602FF 00001280
	v_add_u32_e32 v6, v6, v58                                  // 000000003D0C: 680C7506
	v_add_u32_e32 v7, v7, v59                                  // 000000003D10: 680E7707
	v_lshlrev_b32_e32 v6, 2, v6                                // 000000003D14: 240C0C82
	v_lshlrev_b32_e32 v7, 2, v7                                // 000000003D18: 240E0E82
	s_waitcnt vmcnt(8)                                         // 000000003D1C: BF8C0F78
	s_barrier                                                  // 000000003D20: BF8A0000
	ds_read_b128 a[64:67], v2                                  // 000000003D24: DBFE0000 40000002
	ds_read_b128 a[68:71], v2 offset:64                        // 000000003D2C: DBFE0040 44000002
	ds_read_b128 a[72:75], v2 offset:4224                      // 000000003D34: DBFE1080 48000002
	ds_read_b128 a[76:79], v2 offset:4288                      // 000000003D3C: DBFE10C0 4C000002
	ds_read_b128 a[80:83], v2 offset:512                       // 000000003D44: DBFE0200 50000002
	ds_read_b128 a[84:87], v2 offset:576                       // 000000003D4C: DBFE0240 54000002
	ds_read_b128 a[88:91], v2 offset:4736                      // 000000003D54: DBFE1280 58000002
	ds_read_b128 a[92:95], v2 offset:4800                      // 000000003D5C: DBFE12C0 5C000002
	ds_read_b128 a[96:99], v2 offset:18944                     // 000000003D64: DBFE4A00 60000002
	ds_read_b128 a[100:103], v2 offset:19008                   // 000000003D6C: DBFE4A40 64000002
	ds_read_b128 a[104:107], v2 offset:23168                   // 000000003D74: DBFE5A80 68000002
	ds_read_b128 a[108:111], v2 offset:23232                   // 000000003D7C: DBFE5AC0 6C000002
	ds_read_b128 a[112:115], v2 offset:19456                   // 000000003D84: DBFE4C00 70000002
	ds_read_b128 a[116:119], v2 offset:19520                   // 000000003D8C: DBFE4C40 74000002
	ds_read_b128 a[120:123], v2 offset:23680                   // 000000003D94: DBFE5C80 78000002
	ds_read_b128 a[124:127], v2 offset:23744                   // 000000003D9C: DBFE5CC0 7C000002
	ds_read_b32 v21, v3 offset:8448                            // 000000003DA4: D86C2100 15000003
	ds_read_b32 v22, v3 offset:8704                            // 000000003DAC: D86C2200 16000003
	ds_read_b32 v23, v3 offset:27392                           // 000000003DB4: D86C6B00 17000003
	ds_read_b32 v24, v3 offset:27648                           // 000000003DBC: D86C6C00 18000003
	ds_read_b32 v25, v3 offset:8960                            // 000000003DC4: D86C2300 19000003
	ds_read_b32 v26, v3 offset:9216                            // 000000003DCC: D86C2400 1A000003
	ds_read_b32 v27, v3 offset:27904                           // 000000003DD4: D86C6D00 1B000003
	ds_read_b32 v28, v3 offset:28160                           // 000000003DDC: D86C6E00 1C000003
	s_cmp_lt_i32 s7, 2                                         // 000000003DE4: BF048207
	s_cbranch_scc0 label_0DC6                                  // 000000003DE8: BF8409CB

0000000000003dec <label_03FB>:
	s_waitcnt vmcnt(6) lgkmcnt(0)                              // 000000003DEC: BF8C0076
	s_barrier                                                  // 000000003DF0: BF8A0000
	v_mfma_f32_16x16x128_f8f6f4 v[128:131], a[0:7], a[64:71], 0// 000000003DF4: D3AD0080 1A028100
	v_mfma_f32_16x16x128_f8f6f4 v[132:135], a[0:7], a[80:87], 0// 000000003DFC: D3AD0084 1A02A100
	buffer_load_dwordx4 v43, s[20:23], 0 offen lds             // 000000003E04: E05D1000 8005002B
	s_add_u32 m0, 0x1080, s49                                  // 000000003E0C: 807C31FF 00001080
	buffer_load_dwordx4 v44, s[20:23], 0 offen lds             // 000000003E14: E05D1000 8005002C
	s_add_u32 m0, 0, s51                                       // 000000003E1C: 807C3380
	buffer_load_dwordx4 v45, s[20:23], 0 offen lds             // 000000003E20: E05D1000 8005002D
	s_add_u32 m0, 0x1080, s51                                  // 000000003E28: 807C33FF 00001080
	buffer_load_dwordx4 v46, s[20:23], 0 offen lds             // 000000003E30: E05D1000 8005002E
	s_add_u32 m0, 0x1080, s49                                  // 000000003E38: 807C31FF 00001080
	s_add_u32 m0, m0, s72                                      // 000000003E40: 807C487C
	buffer_load_dword v9, s[28:31], 0 offen lds                // 000000003E44: E0511000 80070009
	s_add_u32 m0, m0, 0x4a00                                   // 000000003E4C: 807CFF7C 00004A00
	buffer_load_dword v11, s[28:31], 0 offen lds               // 000000003E54: E0511000 8007000B
	s_add_u32 m0, 0, s48                                       // 000000003E5C: 807C3080
	buffer_load_dword v38, v19, s[32:35], 0 offen              // 000000003E60: E0501000 80082613
	buffer_load_dwordx4 a[32:35], v47, s[96:99], 0 offen       // 000000003E68: E05C1000 8098202F
	buffer_load_dwordx4 a[36:39], v47, s[96:99], 0 offen offset:1024// 000000003E70: E05C1400 8098242F
	v_mfma_f32_16x16x128_f8f6f4 v[136:139], a[0:7], a[96:103], 0// 000000003E78: D3AD0088 1A02C100
	v_mfma_f32_16x16x128_f8f6f4 v[140:143], a[0:7], a[112:119], 0// 000000003E80: D3AD008C 1A02E100
	buffer_load_dwordx4 a[40:43], v48, s[96:99], 0 offen       // 000000003E88: E05C1000 80982830
	buffer_load_dwordx4 a[44:47], v48, s[96:99], 0 offen offset:1024// 000000003E90: E05C1400 80982C30
	s_waitcnt vmcnt(15)                                        // 000000003E98: BF8C0F7F
	v_mfma_f32_16x16x128_f8f6f4 v[144:147], a[8:15], a[64:71], 0// 000000003E9C: D3AD0090 1A028108
	v_mfma_f32_16x16x128_f8f6f4 v[148:151], a[8:15], a[80:87], 0// 000000003EA4: D3AD0094 1A02A108
	buffer_load_dwordx4 a[48:51], v47, s[96:99], 0 offen offset:2048// 000000003EAC: E05C1800 8098302F
	buffer_load_dwordx4 a[52:55], v47, s[96:99], 0 offen offset:3072// 000000003EB4: E05C1C00 8098342F
	v_mfma_f32_16x16x128_f8f6f4 v[152:155], a[8:15], a[96:103], 0// 000000003EBC: D3AD0098 1A02C108
	v_mfma_f32_16x16x128_f8f6f4 v[156:159], a[8:15], a[112:119], 0// 000000003EC4: D3AD009C 1A02E108
	buffer_load_dwordx4 a[56:59], v48, s[96:99], 0 offen offset:2048// 000000003ECC: E05C1800 80983830
	buffer_load_dwordx4 a[60:63], v48, s[96:99], 0 offen offset:3072// 000000003ED4: E05C1C00 80983C30
	v_mul_f32_dpp v58, v37, v21 row_newbcast:0 row_mask:0xf bank_mask:0xf// 000000003EDC: 0A742AFA FF015025
	v_mov_b32_e32 v59, v58                                     // 000000003EE4: 7E76033A
	v_pk_fma_f32 v[64:65], v[128:129], v[58:59], v[64:65]      // 000000003EE8: D3B04040 1D027580
	v_pk_fma_f32 v[66:67], v[130:131], v[58:59], v[66:67]      // 000000003EF0: D3B04042 1D0A7582
	v_pk_fma_f32 v[80:81], v[144:145], v[58:59], v[80:81]      // 000000003EF8: D3B04050 1D427590
	v_pk_fma_f32 v[82:83], v[146:147], v[58:59], v[82:83]      // 000000003F00: D3B04052 1D4A7592
	v_mul_f32_dpp v58, v37, v22 row_newbcast:0 row_mask:0xf bank_mask:0xf// 000000003F08: 0A742CFA FF015025
	v_mov_b32_e32 v59, v58                                     // 000000003F10: 7E76033A
	v_pk_fma_f32 v[68:69], v[132:133], v[58:59], v[68:69]      // 000000003F14: D3B04044 1D127584
	v_pk_fma_f32 v[70:71], v[134:135], v[58:59], v[70:71]      // 000000003F1C: D3B04046 1D1A7586
	v_pk_fma_f32 v[84:85], v[148:149], v[58:59], v[84:85]      // 000000003F24: D3B04054 1D527594
	v_pk_fma_f32 v[86:87], v[150:151], v[58:59], v[86:87]      // 000000003F2C: D3B04056 1D5A7596
	v_mul_f32_dpp v58, v37, v23 row_newbcast:0 row_mask:0xf bank_mask:0xf// 000000003F34: 0A742EFA FF015025
	v_mov_b32_e32 v59, v58                                     // 000000003F3C: 7E76033A
	v_pk_fma_f32 v[72:73], v[136:137], v[58:59], v[72:73]      // 000000003F40: D3B04048 1D227588
	v_pk_fma_f32 v[74:75], v[138:139], v[58:59], v[74:75]      // 000000003F48: D3B0404A 1D2A758A
	v_pk_fma_f32 v[88:89], v[152:153], v[58:59], v[88:89]      // 000000003F50: D3B04058 1D627598
	v_pk_fma_f32 v[90:91], v[154:155], v[58:59], v[90:91]      // 000000003F58: D3B0405A 1D6A759A
	v_mul_f32_dpp v58, v37, v24 row_newbcast:0 row_mask:0xf bank_mask:0xf// 000000003F60: 0A7430FA FF015025
	v_mov_b32_e32 v59, v58                                     // 000000003F68: 7E76033A
	v_pk_fma_f32 v[76:77], v[140:141], v[58:59], v[76:77]      // 000000003F6C: D3B0404C 1D32758C
	v_pk_fma_f32 v[78:79], v[142:143], v[58:59], v[78:79]      // 000000003F74: D3B0404E 1D3A758E
	v_pk_fma_f32 v[92:93], v[156:157], v[58:59], v[92:93]      // 000000003F7C: D3B0405C 1D72759C
	v_pk_fma_f32 v[94:95], v[158:159], v[58:59], v[94:95]      // 000000003F84: D3B0405E 1D7A759E
	s_waitcnt vmcnt(17)                                        // 000000003F8C: BF8C4F71
	v_mfma_f32_16x16x128_f8f6f4 v[128:131], a[16:23], a[72:79], 0// 000000003F90: D3AD0080 1A029110
	v_mfma_f32_16x16x128_f8f6f4 v[132:135], a[16:23], a[88:95], 0// 000000003F98: D3AD0084 1A02B110
	v_mfma_f32_16x16x128_f8f6f4 v[136:139], a[16:23], a[104:111], 0// 000000003FA0: D3AD0088 1A02D110
	v_mfma_f32_16x16x128_f8f6f4 v[140:143], a[16:23], a[120:127], 0// 000000003FA8: D3AD008C 1A02F110
	s_waitcnt vmcnt(15)                                        // 000000003FB0: BF8C0F7F
	v_mfma_f32_16x16x128_f8f6f4 v[144:147], a[24:31], a[72:79], 0// 000000003FB4: D3AD0090 1A029118
	v_mfma_f32_16x16x128_f8f6f4 v[148:151], a[24:31], a[88:95], 0// 000000003FBC: D3AD0094 1A02B118
	v_mfma_f32_16x16x128_f8f6f4 v[152:155], a[24:31], a[104:111], 0// 000000003FC4: D3AD0098 1A02D118
	v_mfma_f32_16x16x128_f8f6f4 v[156:159], a[24:31], a[120:127], 0// 000000003FCC: D3AD009C 1A02F118
	v_mul_f32_dpp v58, v37, v25 row_newbcast:2 row_mask:0xf bank_mask:0xf// 000000003FD4: 0A7432FA FF015225
	v_mov_b32_e32 v59, v58                                     // 000000003FDC: 7E76033A
	v_pk_fma_f32 v[64:65], v[128:129], v[58:59], v[64:65]      // 000000003FE0: D3B04040 1D027580
	v_pk_fma_f32 v[66:67], v[130:131], v[58:59], v[66:67]      // 000000003FE8: D3B04042 1D0A7582
	v_pk_fma_f32 v[80:81], v[144:145], v[58:59], v[80:81]      // 000000003FF0: D3B04050 1D427590
	v_pk_fma_f32 v[82:83], v[146:147], v[58:59], v[82:83]      // 000000003FF8: D3B04052 1D4A7592
	v_mul_f32_dpp v58, v37, v26 row_newbcast:2 row_mask:0xf bank_mask:0xf// 000000004000: 0A7434FA FF015225
	v_mov_b32_e32 v59, v58                                     // 000000004008: 7E76033A
	v_pk_fma_f32 v[68:69], v[132:133], v[58:59], v[68:69]      // 00000000400C: D3B04044 1D127584
	v_pk_fma_f32 v[70:71], v[134:135], v[58:59], v[70:71]      // 000000004014: D3B04046 1D1A7586
	v_pk_fma_f32 v[84:85], v[148:149], v[58:59], v[84:85]      // 00000000401C: D3B04054 1D527594
	v_pk_fma_f32 v[86:87], v[150:151], v[58:59], v[86:87]      // 000000004024: D3B04056 1D5A7596
	v_mul_f32_dpp v58, v37, v27 row_newbcast:2 row_mask:0xf bank_mask:0xf// 00000000402C: 0A7436FA FF015225
	v_mov_b32_e32 v59, v58                                     // 000000004034: 7E76033A
	v_pk_fma_f32 v[72:73], v[136:137], v[58:59], v[72:73]      // 000000004038: D3B04048 1D227588
	v_pk_fma_f32 v[74:75], v[138:139], v[58:59], v[74:75]      // 000000004040: D3B0404A 1D2A758A
	v_pk_fma_f32 v[88:89], v[152:153], v[58:59], v[88:89]      // 000000004048: D3B04058 1D627598
	v_pk_fma_f32 v[90:91], v[154:155], v[58:59], v[90:91]      // 000000004050: D3B0405A 1D6A759A
	v_mul_f32_dpp v58, v37, v28 row_newbcast:2 row_mask:0xf bank_mask:0xf// 000000004058: 0A7438FA FF015225
	v_mov_b32_e32 v59, v58                                     // 000000004060: 7E76033A
	v_pk_fma_f32 v[76:77], v[140:141], v[58:59], v[76:77]      // 000000004064: D3B0404C 1D32758C
	v_pk_fma_f32 v[78:79], v[142:143], v[58:59], v[78:79]      // 00000000406C: D3B0404E 1D3A758E
	v_pk_fma_f32 v[92:93], v[156:157], v[58:59], v[92:93]      // 000000004074: D3B0405C 1D72759C
	v_pk_fma_f32 v[94:95], v[158:159], v[58:59], v[94:95]      // 00000000407C: D3B0405E 1D7A759E
	s_add_u32 s56, 0x100, s76                                  // 000000004084: 80384CFF 00000100
	s_cmp_lt_u32 s56, s77                                      // 00000000408C: BF0A4D38
	s_cselect_b32 s4, s4, 0                                    // 000000004090: 85048004
	s_add_u32 s32, s4, s32                                     // 000000004094: 80202004
	s_addc_u32 s33, 0, s33                                     // 000000004098: 82212180
	s_waitcnt vmcnt(6)                                         // 00000000409C: BF8C0F76
	s_barrier                                                  // 0000000040A0: BF8A0000
	v_mfma_f32_16x16x128_f8f6f4 v[128:131], a[32:39], a[64:71], 0// 0000000040A4: D3AD0080 1A028120
	v_mfma_f32_16x16x128_f8f6f4 v[132:135], a[32:39], a[80:87], 0// 0000000040AC: D3AD0084 1A02A120
	buffer_load_dword v37, v17, s[32:35], 0 offen              // 0000000040B4: E0501000 80082511
	buffer_load_dwordx4 a[0:3], v47, s[24:27], 0 offen         // 0000000040BC: E05C1000 8086002F
	buffer_load_dwordx4 a[4:7], v47, s[24:27], 0 offen offset:1024// 0000000040C4: E05C1400 8086042F
	v_mfma_f32_16x16x128_f8f6f4 v[136:139], a[32:39], a[96:103], 0// 0000000040CC: D3AD0088 1A02C120
	v_mfma_f32_16x16x128_f8f6f4 v[140:143], a[32:39], a[112:119], 0// 0000000040D4: D3AD008C 1A02E120
	buffer_load_dwordx4 a[8:11], v48, s[24:27], 0 offen        // 0000000040DC: E05C1000 80860830
	buffer_load_dwordx4 a[12:15], v48, s[24:27], 0 offen offset:1024// 0000000040E4: E05C1400 80860C30
	s_waitcnt vmcnt(9)                                         // 0000000040EC: BF8C0F79
	v_mfma_f32_16x16x128_f8f6f4 v[144:147], a[40:47], a[64:71], 0// 0000000040F0: D3AD0090 1A028128
	v_mfma_f32_16x16x128_f8f6f4 v[148:151], a[40:47], a[80:87], 0// 0000000040F8: D3AD0094 1A02A128
	buffer_load_dwordx4 a[16:19], v47, s[24:27], 0 offen offset:2048// 000000004100: E05C1800 8086102F
	buffer_load_dwordx4 a[20:23], v47, s[24:27], 0 offen offset:3072// 000000004108: E05C1C00 8086142F
	v_mfma_f32_16x16x128_f8f6f4 v[152:155], a[40:47], a[96:103], 0// 000000004110: D3AD0098 1A02C128
	v_mfma_f32_16x16x128_f8f6f4 v[156:159], a[40:47], a[112:119], 0// 000000004118: D3AD009C 1A02E128
	buffer_load_dwordx4 a[24:27], v48, s[24:27], 0 offen offset:2048// 000000004120: E05C1800 80861830
	buffer_load_dwordx4 a[28:31], v48, s[24:27], 0 offen offset:3072// 000000004128: E05C1C00 80861C30
	v_mul_f32_dpp v58, v38, v21 row_newbcast:0 row_mask:0xf bank_mask:0xf// 000000004130: 0A742AFA FF015026
	v_mov_b32_e32 v59, v58                                     // 000000004138: 7E76033A
	v_pk_fma_f32 v[96:97], v[128:129], v[58:59], v[96:97]      // 00000000413C: D3B04060 1D827580
	v_pk_fma_f32 v[98:99], v[130:131], v[58:59], v[98:99]      // 000000004144: D3B04062 1D8A7582
	v_pk_fma_f32 v[112:113], v[144:145], v[58:59], v[112:113]  // 00000000414C: D3B04070 1DC27590
	v_pk_fma_f32 v[114:115], v[146:147], v[58:59], v[114:115]  // 000000004154: D3B04072 1DCA7592
	v_mul_f32_dpp v58, v38, v22 row_newbcast:0 row_mask:0xf bank_mask:0xf// 00000000415C: 0A742CFA FF015026
	v_mov_b32_e32 v59, v58                                     // 000000004164: 7E76033A
	v_pk_fma_f32 v[100:101], v[132:133], v[58:59], v[100:101]  // 000000004168: D3B04064 1D927584
	v_pk_fma_f32 v[102:103], v[134:135], v[58:59], v[102:103]  // 000000004170: D3B04066 1D9A7586
	v_pk_fma_f32 v[116:117], v[148:149], v[58:59], v[116:117]  // 000000004178: D3B04074 1DD27594
	v_pk_fma_f32 v[118:119], v[150:151], v[58:59], v[118:119]  // 000000004180: D3B04076 1DDA7596
	v_mul_f32_dpp v58, v38, v23 row_newbcast:0 row_mask:0xf bank_mask:0xf// 000000004188: 0A742EFA FF015026
	v_mov_b32_e32 v59, v58                                     // 000000004190: 7E76033A
	v_pk_fma_f32 v[104:105], v[136:137], v[58:59], v[104:105]  // 000000004194: D3B04068 1DA27588
	v_pk_fma_f32 v[106:107], v[138:139], v[58:59], v[106:107]  // 00000000419C: D3B0406A 1DAA758A
	v_pk_fma_f32 v[120:121], v[152:153], v[58:59], v[120:121]  // 0000000041A4: D3B04078 1DE27598
	v_pk_fma_f32 v[122:123], v[154:155], v[58:59], v[122:123]  // 0000000041AC: D3B0407A 1DEA759A
	v_mul_f32_dpp v58, v38, v24 row_newbcast:0 row_mask:0xf bank_mask:0xf// 0000000041B4: 0A7430FA FF015026
	v_mov_b32_e32 v59, v58                                     // 0000000041BC: 7E76033A
	v_pk_fma_f32 v[108:109], v[140:141], v[58:59], v[108:109]  // 0000000041C0: D3B0406C 1DB2758C
	v_pk_fma_f32 v[110:111], v[142:143], v[58:59], v[110:111]  // 0000000041C8: D3B0406E 1DBA758E
	v_pk_fma_f32 v[124:125], v[156:157], v[58:59], v[124:125]  // 0000000041D0: D3B0407C 1DF2759C
	v_pk_fma_f32 v[126:127], v[158:159], v[58:59], v[126:127]  // 0000000041D8: D3B0407E 1DFA759E
	s_waitcnt vmcnt(11)                                        // 0000000041E0: BF8C0F7B
	v_mfma_f32_16x16x128_f8f6f4 v[128:131], a[48:55], a[72:79], 0// 0000000041E4: D3AD0080 1A029130
	ds_read_b128 a[128:131], v2 offset:9472                    // 0000000041EC: DBFE2500 80000002
	ds_read_b128 a[132:135], v2 offset:9536                    // 0000000041F4: DBFE2540 84000002
	ds_read_b128 a[136:139], v2 offset:13696                   // 0000000041FC: DBFE3580 88000002
	ds_read_b128 a[140:143], v2 offset:13760                   // 000000004204: DBFE35C0 8C000002
	ds_read_b32 v29, v3 offset:17920                           // 00000000420C: D86C4600 1D000003
	ds_read_b32 v30, v3 offset:18176                           // 000000004214: D86C4700 1E000003
	v_mfma_f32_16x16x128_f8f6f4 v[132:135], a[48:55], a[88:95], 0// 00000000421C: D3AD0084 1A02B130
	v_mfma_f32_16x16x128_f8f6f4 v[136:139], a[48:55], a[104:111], 0// 000000004224: D3AD0088 1A02D130
	ds_read_b128 a[144:147], v2 offset:9984                    // 00000000422C: DBFE2700 90000002
	ds_read_b128 a[148:151], v2 offset:10048                   // 000000004234: DBFE2740 94000002
	ds_read_b128 a[152:155], v2 offset:14208                   // 00000000423C: DBFE3780 98000002
	ds_read_b128 a[156:159], v2 offset:14272                   // 000000004244: DBFE37C0 9C000002
	ds_read_b32 v31, v3 offset:36864                           // 00000000424C: D86C9000 1F000003
	ds_read_b32 v32, v3 offset:37120                           // 000000004254: D86C9100 20000003
	v_mfma_f32_16x16x128_f8f6f4 v[140:143], a[48:55], a[120:127], 0// 00000000425C: D3AD008C 1A02F130
	s_waitcnt vmcnt(9)                                         // 000000004264: BF8C0F79
	v_mfma_f32_16x16x128_f8f6f4 v[144:147], a[56:63], a[72:79], 0// 000000004268: D3AD0090 1A029138
	ds_read_b128 a[160:163], v2 offset:28416                   // 000000004270: DBFE6F00 A0000002
	ds_read_b128 a[164:167], v2 offset:28480                   // 000000004278: DBFE6F40 A4000002
	ds_read_b128 a[168:171], v2 offset:32640                   // 000000004280: DBFE7F80 A8000002
	ds_read_b128 a[172:175], v2 offset:32704                   // 000000004288: DBFE7FC0 AC000002
	ds_read_b32 v33, v3 offset:18432                           // 000000004290: D86C4800 21000003
	ds_read_b32 v34, v3 offset:18688                           // 000000004298: D86C4900 22000003
	v_mfma_f32_16x16x128_f8f6f4 v[148:151], a[56:63], a[88:95], 0// 0000000042A0: D3AD0094 1A02B138
	v_mfma_f32_16x16x128_f8f6f4 v[152:155], a[56:63], a[104:111], 0// 0000000042A8: D3AD0098 1A02D138
	ds_read_b128 a[176:179], v2 offset:28928                   // 0000000042B0: DBFE7100 B0000002
	ds_read_b128 a[180:183], v2 offset:28992                   // 0000000042B8: DBFE7140 B4000002
	ds_read_b128 a[184:187], v2 offset:33152                   // 0000000042C0: DBFE8180 B8000002
	ds_read_b128 a[188:191], v2 offset:33216                   // 0000000042C8: DBFE81C0 BC000002
	ds_read_b32 v35, v3 offset:37376                           // 0000000042D0: D86C9200 23000003
	ds_read_b32 v36, v3 offset:37632                           // 0000000042D8: D86C9300 24000003
	v_mfma_f32_16x16x128_f8f6f4 v[156:159], a[56:63], a[120:127], 0// 0000000042E0: D3AD009C 1A02F138
	v_mul_f32_dpp v58, v38, v25 row_newbcast:2 row_mask:0xf bank_mask:0xf// 0000000042E8: 0A7432FA FF015226
	v_mov_b32_e32 v59, v58                                     // 0000000042F0: 7E76033A
	v_pk_fma_f32 v[96:97], v[128:129], v[58:59], v[96:97]      // 0000000042F4: D3B04060 1D827580
	v_pk_fma_f32 v[98:99], v[130:131], v[58:59], v[98:99]      // 0000000042FC: D3B04062 1D8A7582
	v_pk_fma_f32 v[112:113], v[144:145], v[58:59], v[112:113]  // 000000004304: D3B04070 1DC27590
	v_pk_fma_f32 v[114:115], v[146:147], v[58:59], v[114:115]  // 00000000430C: D3B04072 1DCA7592
	v_mul_f32_dpp v58, v38, v26 row_newbcast:2 row_mask:0xf bank_mask:0xf// 000000004314: 0A7434FA FF015226
	v_mov_b32_e32 v59, v58                                     // 00000000431C: 7E76033A
	v_pk_fma_f32 v[100:101], v[132:133], v[58:59], v[100:101]  // 000000004320: D3B04064 1D927584
	v_pk_fma_f32 v[102:103], v[134:135], v[58:59], v[102:103]  // 000000004328: D3B04066 1D9A7586
	v_pk_fma_f32 v[116:117], v[148:149], v[58:59], v[116:117]  // 000000004330: D3B04074 1DD27594
	v_pk_fma_f32 v[118:119], v[150:151], v[58:59], v[118:119]  // 000000004338: D3B04076 1DDA7596
	v_mul_f32_dpp v58, v38, v27 row_newbcast:2 row_mask:0xf bank_mask:0xf// 000000004340: 0A7436FA FF015226
	v_mov_b32_e32 v59, v58                                     // 000000004348: 7E76033A
	v_pk_fma_f32 v[104:105], v[136:137], v[58:59], v[104:105]  // 00000000434C: D3B04068 1DA27588
	v_pk_fma_f32 v[106:107], v[138:139], v[58:59], v[106:107]  // 000000004354: D3B0406A 1DAA758A
	v_pk_fma_f32 v[120:121], v[152:153], v[58:59], v[120:121]  // 00000000435C: D3B04078 1DE27598
	v_pk_fma_f32 v[122:123], v[154:155], v[58:59], v[122:123]  // 000000004364: D3B0407A 1DEA759A
	v_mul_f32_dpp v58, v38, v28 row_newbcast:2 row_mask:0xf bank_mask:0xf// 00000000436C: 0A7438FA FF015226
	v_mov_b32_e32 v59, v58                                     // 000000004374: 7E76033A
	v_pk_fma_f32 v[108:109], v[140:141], v[58:59], v[108:109]  // 000000004378: D3B0406C 1DB2758C
	v_pk_fma_f32 v[110:111], v[142:143], v[58:59], v[110:111]  // 000000004380: D3B0406E 1DBA758E
	v_pk_fma_f32 v[124:125], v[156:157], v[58:59], v[124:125]  // 000000004388: D3B0407C 1DF2759C
	v_pk_fma_f32 v[126:127], v[158:159], v[58:59], v[126:127]  // 000000004390: D3B0407E 1DFA759E
	s_add_u32 s56, 0x200, s76                                  // 000000004398: 80384CFF 00000200
	s_cmp_lt_u32 s56, s77                                      // 0000000043A0: BF0A4D38
	s_cselect_b32 s53, s53, 0                                  // 0000000043A4: 85358035
	s_cselect_b32 s3, s3, 0                                    // 0000000043A8: 85038003
	s_add_u32 s56, 0x200, s76                                  // 0000000043AC: 80384CFF 00000200
	s_cmp_lt_u32 s56, s77                                      // 0000000043B4: BF0A4D38
	s_cselect_b32 s54, s54, 0                                  // 0000000043B8: 85368036
	s_add_u32 s20, s53, s20                                    // 0000000043BC: 80141435
	s_addc_u32 s21, 0, s21                                     // 0000000043C0: 82151580
	s_add_u32 s28, s3, s28                                     // 0000000043C4: 801C1C03
	s_addc_u32 s29, 0, s29                                     // 0000000043C8: 821D1D80
	s_add_u32 s24, s54, s24                                    // 0000000043CC: 80181836
	s_addc_u32 s25, 0, s25                                     // 0000000043D0: 82191980
	s_add_u32 s96, s94, s96                                    // 0000000043D4: 8060605E
	s_addc_u32 s97, 0, s97                                     // 0000000043D8: 82616180
	s_addk_i32 s76, 0x100                                      // 0000000043DC: B74C0100
	s_cmp_lt_i32 s76, s77                                      // 0000000043E0: BF044D4C
	s_cbranch_scc0 label_06FA                                  // 0000000043E4: BF840180
	s_waitcnt vmcnt(6) lgkmcnt(0)                              // 0000000043E8: BF8C0076
	s_barrier                                                  // 0000000043EC: BF8A0000
	v_mfma_f32_16x16x128_f8f6f4 v[128:131], a[0:7], a[128:135], 0// 0000000043F0: D3AD0080 1A030100
	v_mfma_f32_16x16x128_f8f6f4 v[132:135], a[0:7], a[144:151], 0// 0000000043F8: D3AD0084 1A032100
	buffer_load_dwordx4 v43, s[20:23], 0 offen lds             // 000000004400: E05D1000 8005002B
	s_add_u32 m0, 0x1080, s48                                  // 000000004408: 807C30FF 00001080
	buffer_load_dwordx4 v44, s[20:23], 0 offen lds             // 000000004410: E05D1000 8005002C
	s_add_u32 m0, 0, s50                                       // 000000004418: 807C3280
	buffer_load_dwordx4 v45, s[20:23], 0 offen lds             // 00000000441C: E05D1000 8005002D
	s_add_u32 m0, 0x1080, s50                                  // 000000004424: 807C32FF 00001080
	buffer_load_dwordx4 v46, s[20:23], 0 offen lds             // 00000000442C: E05D1000 8005002E
	s_add_u32 m0, 0x1080, s48                                  // 000000004434: 807C30FF 00001080
	s_add_u32 m0, m0, s72                                      // 00000000443C: 807C487C
	buffer_load_dword v9, s[28:31], 0 offen lds                // 000000004440: E0511000 80070009
	s_add_u32 m0, m0, 0x4a00                                   // 000000004448: 807CFF7C 00004A00
	buffer_load_dword v11, s[28:31], 0 offen lds               // 000000004450: E0511000 8007000B
	s_add_u32 m0, 0, s49                                       // 000000004458: 807C3180
	buffer_load_dword v38, v19, s[32:35], 0 offen              // 00000000445C: E0501000 80082613
	buffer_load_dwordx4 a[32:35], v47, s[96:99], 0 offen       // 000000004464: E05C1000 8098202F
	buffer_load_dwordx4 a[36:39], v47, s[96:99], 0 offen offset:1024// 00000000446C: E05C1400 8098242F
	v_mfma_f32_16x16x128_f8f6f4 v[136:139], a[0:7], a[160:167], 0// 000000004474: D3AD0088 1A034100
	v_mfma_f32_16x16x128_f8f6f4 v[140:143], a[0:7], a[176:183], 0// 00000000447C: D3AD008C 1A036100
	buffer_load_dwordx4 a[40:43], v48, s[96:99], 0 offen       // 000000004484: E05C1000 80982830
	buffer_load_dwordx4 a[44:47], v48, s[96:99], 0 offen offset:1024// 00000000448C: E05C1400 80982C30
	s_waitcnt vmcnt(15)                                        // 000000004494: BF8C0F7F
	v_mfma_f32_16x16x128_f8f6f4 v[144:147], a[8:15], a[128:135], 0// 000000004498: D3AD0090 1A030108
	v_mfma_f32_16x16x128_f8f6f4 v[148:151], a[8:15], a[144:151], 0// 0000000044A0: D3AD0094 1A032108
	buffer_load_dwordx4 a[48:51], v47, s[96:99], 0 offen offset:2048// 0000000044A8: E05C1800 8098302F
	buffer_load_dwordx4 a[52:55], v47, s[96:99], 0 offen offset:3072// 0000000044B0: E05C1C00 8098342F
	v_mfma_f32_16x16x128_f8f6f4 v[152:155], a[8:15], a[160:167], 0// 0000000044B8: D3AD0098 1A034108
	v_mfma_f32_16x16x128_f8f6f4 v[156:159], a[8:15], a[176:183], 0// 0000000044C0: D3AD009C 1A036108
	buffer_load_dwordx4 a[56:59], v48, s[96:99], 0 offen offset:2048// 0000000044C8: E05C1800 80983830
	buffer_load_dwordx4 a[60:63], v48, s[96:99], 0 offen offset:3072// 0000000044D0: E05C1C00 80983C30
	v_mul_f32_dpp v58, v37, v29 row_newbcast:0 row_mask:0xf bank_mask:0xf// 0000000044D8: 0A743AFA FF015025
	v_mov_b32_e32 v59, v58                                     // 0000000044E0: 7E76033A
	v_pk_fma_f32 v[64:65], v[128:129], v[58:59], v[64:65]      // 0000000044E4: D3B04040 1D027580
	v_pk_fma_f32 v[66:67], v[130:131], v[58:59], v[66:67]      // 0000000044EC: D3B04042 1D0A7582
	v_pk_fma_f32 v[80:81], v[144:145], v[58:59], v[80:81]      // 0000000044F4: D3B04050 1D427590
	v_pk_fma_f32 v[82:83], v[146:147], v[58:59], v[82:83]      // 0000000044FC: D3B04052 1D4A7592
	v_mul_f32_dpp v58, v37, v30 row_newbcast:0 row_mask:0xf bank_mask:0xf// 000000004504: 0A743CFA FF015025
	v_mov_b32_e32 v59, v58                                     // 00000000450C: 7E76033A
	v_pk_fma_f32 v[68:69], v[132:133], v[58:59], v[68:69]      // 000000004510: D3B04044 1D127584
	v_pk_fma_f32 v[70:71], v[134:135], v[58:59], v[70:71]      // 000000004518: D3B04046 1D1A7586
	v_pk_fma_f32 v[84:85], v[148:149], v[58:59], v[84:85]      // 000000004520: D3B04054 1D527594
	v_pk_fma_f32 v[86:87], v[150:151], v[58:59], v[86:87]      // 000000004528: D3B04056 1D5A7596
	v_mul_f32_dpp v58, v37, v31 row_newbcast:0 row_mask:0xf bank_mask:0xf// 000000004530: 0A743EFA FF015025
	v_mov_b32_e32 v59, v58                                     // 000000004538: 7E76033A
	v_pk_fma_f32 v[72:73], v[136:137], v[58:59], v[72:73]      // 00000000453C: D3B04048 1D227588
	v_pk_fma_f32 v[74:75], v[138:139], v[58:59], v[74:75]      // 000000004544: D3B0404A 1D2A758A
	v_pk_fma_f32 v[88:89], v[152:153], v[58:59], v[88:89]      // 00000000454C: D3B04058 1D627598
	v_pk_fma_f32 v[90:91], v[154:155], v[58:59], v[90:91]      // 000000004554: D3B0405A 1D6A759A
	v_mul_f32_dpp v58, v37, v32 row_newbcast:0 row_mask:0xf bank_mask:0xf// 00000000455C: 0A7440FA FF015025
	v_mov_b32_e32 v59, v58                                     // 000000004564: 7E76033A
	v_pk_fma_f32 v[76:77], v[140:141], v[58:59], v[76:77]      // 000000004568: D3B0404C 1D32758C
	v_pk_fma_f32 v[78:79], v[142:143], v[58:59], v[78:79]      // 000000004570: D3B0404E 1D3A758E
	v_pk_fma_f32 v[92:93], v[156:157], v[58:59], v[92:93]      // 000000004578: D3B0405C 1D72759C
	v_pk_fma_f32 v[94:95], v[158:159], v[58:59], v[94:95]      // 000000004580: D3B0405E 1D7A759E
	s_waitcnt vmcnt(17)                                        // 000000004588: BF8C4F71
	v_mfma_f32_16x16x128_f8f6f4 v[128:131], a[16:23], a[136:143], 0// 00000000458C: D3AD0080 1A031110
	v_mfma_f32_16x16x128_f8f6f4 v[132:135], a[16:23], a[152:159], 0// 000000004594: D3AD0084 1A033110
	v_mfma_f32_16x16x128_f8f6f4 v[136:139], a[16:23], a[168:175], 0// 00000000459C: D3AD0088 1A035110
	v_mfma_f32_16x16x128_f8f6f4 v[140:143], a[16:23], a[184:191], 0// 0000000045A4: D3AD008C 1A037110
	s_waitcnt vmcnt(15)                                        // 0000000045AC: BF8C0F7F
	v_mfma_f32_16x16x128_f8f6f4 v[144:147], a[24:31], a[136:143], 0// 0000000045B0: D3AD0090 1A031118
	v_mfma_f32_16x16x128_f8f6f4 v[148:151], a[24:31], a[152:159], 0// 0000000045B8: D3AD0094 1A033118
	v_mfma_f32_16x16x128_f8f6f4 v[152:155], a[24:31], a[168:175], 0// 0000000045C0: D3AD0098 1A035118
	v_mfma_f32_16x16x128_f8f6f4 v[156:159], a[24:31], a[184:191], 0// 0000000045C8: D3AD009C 1A037118
	v_mul_f32_dpp v58, v37, v33 row_newbcast:2 row_mask:0xf bank_mask:0xf// 0000000045D0: 0A7442FA FF015225
	v_mov_b32_e32 v59, v58                                     // 0000000045D8: 7E76033A
	v_pk_fma_f32 v[64:65], v[128:129], v[58:59], v[64:65]      // 0000000045DC: D3B04040 1D027580
	v_pk_fma_f32 v[66:67], v[130:131], v[58:59], v[66:67]      // 0000000045E4: D3B04042 1D0A7582
	v_pk_fma_f32 v[80:81], v[144:145], v[58:59], v[80:81]      // 0000000045EC: D3B04050 1D427590
	v_pk_fma_f32 v[82:83], v[146:147], v[58:59], v[82:83]      // 0000000045F4: D3B04052 1D4A7592
	v_mul_f32_dpp v58, v37, v34 row_newbcast:2 row_mask:0xf bank_mask:0xf// 0000000045FC: 0A7444FA FF015225
	v_mov_b32_e32 v59, v58                                     // 000000004604: 7E76033A
	v_pk_fma_f32 v[68:69], v[132:133], v[58:59], v[68:69]      // 000000004608: D3B04044 1D127584
	v_pk_fma_f32 v[70:71], v[134:135], v[58:59], v[70:71]      // 000000004610: D3B04046 1D1A7586
	v_pk_fma_f32 v[84:85], v[148:149], v[58:59], v[84:85]      // 000000004618: D3B04054 1D527594
	v_pk_fma_f32 v[86:87], v[150:151], v[58:59], v[86:87]      // 000000004620: D3B04056 1D5A7596
	v_mul_f32_dpp v58, v37, v35 row_newbcast:2 row_mask:0xf bank_mask:0xf// 000000004628: 0A7446FA FF015225
	v_mov_b32_e32 v59, v58                                     // 000000004630: 7E76033A
	v_pk_fma_f32 v[72:73], v[136:137], v[58:59], v[72:73]      // 000000004634: D3B04048 1D227588
	v_pk_fma_f32 v[74:75], v[138:139], v[58:59], v[74:75]      // 00000000463C: D3B0404A 1D2A758A
	v_pk_fma_f32 v[88:89], v[152:153], v[58:59], v[88:89]      // 000000004644: D3B04058 1D627598
	v_pk_fma_f32 v[90:91], v[154:155], v[58:59], v[90:91]      // 00000000464C: D3B0405A 1D6A759A
	v_mul_f32_dpp v58, v37, v36 row_newbcast:2 row_mask:0xf bank_mask:0xf// 000000004654: 0A7448FA FF015225
	v_mov_b32_e32 v59, v58                                     // 00000000465C: 7E76033A
	v_pk_fma_f32 v[76:77], v[140:141], v[58:59], v[76:77]      // 000000004660: D3B0404C 1D32758C
	v_pk_fma_f32 v[78:79], v[142:143], v[58:59], v[78:79]      // 000000004668: D3B0404E 1D3A758E
	v_pk_fma_f32 v[92:93], v[156:157], v[58:59], v[92:93]      // 000000004670: D3B0405C 1D72759C
	v_pk_fma_f32 v[94:95], v[158:159], v[58:59], v[94:95]      // 000000004678: D3B0405E 1D7A759E
	s_add_u32 s56, 0x100, s76                                  // 000000004680: 80384CFF 00000100
	s_cmp_lt_u32 s56, s77                                      // 000000004688: BF0A4D38
	s_cselect_b32 s4, s4, 0                                    // 00000000468C: 85048004
	s_add_u32 s32, s4, s32                                     // 000000004690: 80202004
	s_addc_u32 s33, 0, s33                                     // 000000004694: 82212180
	s_waitcnt vmcnt(6)                                         // 000000004698: BF8C0F76
	s_barrier                                                  // 00000000469C: BF8A0000
	v_mfma_f32_16x16x128_f8f6f4 v[128:131], a[32:39], a[128:135], 0// 0000000046A0: D3AD0080 1A030120
	v_mfma_f32_16x16x128_f8f6f4 v[132:135], a[32:39], a[144:151], 0// 0000000046A8: D3AD0084 1A032120
	buffer_load_dword v37, v17, s[32:35], 0 offen              // 0000000046B0: E0501000 80082511
	buffer_load_dwordx4 a[0:3], v47, s[24:27], 0 offen         // 0000000046B8: E05C1000 8086002F
	buffer_load_dwordx4 a[4:7], v47, s[24:27], 0 offen offset:1024// 0000000046C0: E05C1400 8086042F
	v_mfma_f32_16x16x128_f8f6f4 v[136:139], a[32:39], a[160:167], 0// 0000000046C8: D3AD0088 1A034120
	v_mfma_f32_16x16x128_f8f6f4 v[140:143], a[32:39], a[176:183], 0// 0000000046D0: D3AD008C 1A036120
	buffer_load_dwordx4 a[8:11], v48, s[24:27], 0 offen        // 0000000046D8: E05C1000 80860830
	buffer_load_dwordx4 a[12:15], v48, s[24:27], 0 offen offset:1024// 0000000046E0: E05C1400 80860C30
	s_waitcnt vmcnt(9)                                         // 0000000046E8: BF8C0F79
	v_mfma_f32_16x16x128_f8f6f4 v[144:147], a[40:47], a[128:135], 0// 0000000046EC: D3AD0090 1A030128
	v_mfma_f32_16x16x128_f8f6f4 v[148:151], a[40:47], a[144:151], 0// 0000000046F4: D3AD0094 1A032128
	buffer_load_dwordx4 a[16:19], v47, s[24:27], 0 offen offset:2048// 0000000046FC: E05C1800 8086102F
	buffer_load_dwordx4 a[20:23], v47, s[24:27], 0 offen offset:3072// 000000004704: E05C1C00 8086142F
	v_mfma_f32_16x16x128_f8f6f4 v[152:155], a[40:47], a[160:167], 0// 00000000470C: D3AD0098 1A034128
	v_mfma_f32_16x16x128_f8f6f4 v[156:159], a[40:47], a[176:183], 0// 000000004714: D3AD009C 1A036128
	buffer_load_dwordx4 a[24:27], v48, s[24:27], 0 offen offset:2048// 00000000471C: E05C1800 80861830
	buffer_load_dwordx4 a[28:31], v48, s[24:27], 0 offen offset:3072// 000000004724: E05C1C00 80861C30
	v_mul_f32_dpp v58, v38, v29 row_newbcast:0 row_mask:0xf bank_mask:0xf// 00000000472C: 0A743AFA FF015026
	v_mov_b32_e32 v59, v58                                     // 000000004734: 7E76033A
	v_pk_fma_f32 v[96:97], v[128:129], v[58:59], v[96:97]      // 000000004738: D3B04060 1D827580
	v_pk_fma_f32 v[98:99], v[130:131], v[58:59], v[98:99]      // 000000004740: D3B04062 1D8A7582
	v_pk_fma_f32 v[112:113], v[144:145], v[58:59], v[112:113]  // 000000004748: D3B04070 1DC27590
	v_pk_fma_f32 v[114:115], v[146:147], v[58:59], v[114:115]  // 000000004750: D3B04072 1DCA7592
	v_mul_f32_dpp v58, v38, v30 row_newbcast:0 row_mask:0xf bank_mask:0xf// 000000004758: 0A743CFA FF015026
	v_mov_b32_e32 v59, v58                                     // 000000004760: 7E76033A
	v_pk_fma_f32 v[100:101], v[132:133], v[58:59], v[100:101]  // 000000004764: D3B04064 1D927584
	v_pk_fma_f32 v[102:103], v[134:135], v[58:59], v[102:103]  // 00000000476C: D3B04066 1D9A7586
	v_pk_fma_f32 v[116:117], v[148:149], v[58:59], v[116:117]  // 000000004774: D3B04074 1DD27594
	v_pk_fma_f32 v[118:119], v[150:151], v[58:59], v[118:119]  // 00000000477C: D3B04076 1DDA7596
	v_mul_f32_dpp v58, v38, v31 row_newbcast:0 row_mask:0xf bank_mask:0xf// 000000004784: 0A743EFA FF015026
	v_mov_b32_e32 v59, v58                                     // 00000000478C: 7E76033A
	v_pk_fma_f32 v[104:105], v[136:137], v[58:59], v[104:105]  // 000000004790: D3B04068 1DA27588
	v_pk_fma_f32 v[106:107], v[138:139], v[58:59], v[106:107]  // 000000004798: D3B0406A 1DAA758A
	v_pk_fma_f32 v[120:121], v[152:153], v[58:59], v[120:121]  // 0000000047A0: D3B04078 1DE27598
	v_pk_fma_f32 v[122:123], v[154:155], v[58:59], v[122:123]  // 0000000047A8: D3B0407A 1DEA759A
	v_mul_f32_dpp v58, v38, v32 row_newbcast:0 row_mask:0xf bank_mask:0xf// 0000000047B0: 0A7440FA FF015026
	v_mov_b32_e32 v59, v58                                     // 0000000047B8: 7E76033A
	v_pk_fma_f32 v[108:109], v[140:141], v[58:59], v[108:109]  // 0000000047BC: D3B0406C 1DB2758C
	v_pk_fma_f32 v[110:111], v[142:143], v[58:59], v[110:111]  // 0000000047C4: D3B0406E 1DBA758E
	v_pk_fma_f32 v[124:125], v[156:157], v[58:59], v[124:125]  // 0000000047CC: D3B0407C 1DF2759C
	v_pk_fma_f32 v[126:127], v[158:159], v[58:59], v[126:127]  // 0000000047D4: D3B0407E 1DFA759E
	s_waitcnt vmcnt(11)                                        // 0000000047DC: BF8C0F7B
	v_mfma_f32_16x16x128_f8f6f4 v[128:131], a[48:55], a[136:143], 0// 0000000047E0: D3AD0080 1A031130
	ds_read_b128 a[64:67], v2                                  // 0000000047E8: DBFE0000 40000002
	ds_read_b128 a[68:71], v2 offset:64                        // 0000000047F0: DBFE0040 44000002
	ds_read_b128 a[72:75], v2 offset:4224                      // 0000000047F8: DBFE1080 48000002
	ds_read_b128 a[76:79], v2 offset:4288                      // 000000004800: DBFE10C0 4C000002
	ds_read_b32 v21, v3 offset:8448                            // 000000004808: D86C2100 15000003
	ds_read_b32 v22, v3 offset:8704                            // 000000004810: D86C2200 16000003
	v_mfma_f32_16x16x128_f8f6f4 v[132:135], a[48:55], a[152:159], 0// 000000004818: D3AD0084 1A033130
	v_mfma_f32_16x16x128_f8f6f4 v[136:139], a[48:55], a[168:175], 0// 000000004820: D3AD0088 1A035130
	ds_read_b128 a[80:83], v2 offset:512                       // 000000004828: DBFE0200 50000002
	ds_read_b128 a[84:87], v2 offset:576                       // 000000004830: DBFE0240 54000002
	ds_read_b128 a[88:91], v2 offset:4736                      // 000000004838: DBFE1280 58000002
	ds_read_b128 a[92:95], v2 offset:4800                      // 000000004840: DBFE12C0 5C000002
	ds_read_b32 v23, v3 offset:27392                           // 000000004848: D86C6B00 17000003
	ds_read_b32 v24, v3 offset:27648                           // 000000004850: D86C6C00 18000003
	v_mfma_f32_16x16x128_f8f6f4 v[140:143], a[48:55], a[184:191], 0// 000000004858: D3AD008C 1A037130
	s_waitcnt vmcnt(9)                                         // 000000004860: BF8C0F79
	v_mfma_f32_16x16x128_f8f6f4 v[144:147], a[56:63], a[136:143], 0// 000000004864: D3AD0090 1A031138
	ds_read_b128 a[96:99], v2 offset:18944                     // 00000000486C: DBFE4A00 60000002
	ds_read_b128 a[100:103], v2 offset:19008                   // 000000004874: DBFE4A40 64000002
	ds_read_b128 a[104:107], v2 offset:23168                   // 00000000487C: DBFE5A80 68000002
	ds_read_b128 a[108:111], v2 offset:23232                   // 000000004884: DBFE5AC0 6C000002
	ds_read_b32 v25, v3 offset:8960                            // 00000000488C: D86C2300 19000003
	ds_read_b32 v26, v3 offset:9216                            // 000000004894: D86C2400 1A000003
	v_mfma_f32_16x16x128_f8f6f4 v[148:151], a[56:63], a[152:159], 0// 00000000489C: D3AD0094 1A033138
	v_mfma_f32_16x16x128_f8f6f4 v[152:155], a[56:63], a[168:175], 0// 0000000048A4: D3AD0098 1A035138
	ds_read_b128 a[112:115], v2 offset:19456                   // 0000000048AC: DBFE4C00 70000002
	ds_read_b128 a[116:119], v2 offset:19520                   // 0000000048B4: DBFE4C40 74000002
	ds_read_b128 a[120:123], v2 offset:23680                   // 0000000048BC: DBFE5C80 78000002
	ds_read_b128 a[124:127], v2 offset:23744                   // 0000000048C4: DBFE5CC0 7C000002
	ds_read_b32 v27, v3 offset:27904                           // 0000000048CC: D86C6D00 1B000003
	ds_read_b32 v28, v3 offset:28160                           // 0000000048D4: D86C6E00 1C000003
	v_mfma_f32_16x16x128_f8f6f4 v[156:159], a[56:63], a[184:191], 0// 0000000048DC: D3AD009C 1A037138
	v_mul_f32_dpp v58, v38, v33 row_newbcast:2 row_mask:0xf bank_mask:0xf// 0000000048E4: 0A7442FA FF015226
	v_mov_b32_e32 v59, v58                                     // 0000000048EC: 7E76033A
	v_pk_fma_f32 v[96:97], v[128:129], v[58:59], v[96:97]      // 0000000048F0: D3B04060 1D827580
	v_pk_fma_f32 v[98:99], v[130:131], v[58:59], v[98:99]      // 0000000048F8: D3B04062 1D8A7582
	v_pk_fma_f32 v[112:113], v[144:145], v[58:59], v[112:113]  // 000000004900: D3B04070 1DC27590
	v_pk_fma_f32 v[114:115], v[146:147], v[58:59], v[114:115]  // 000000004908: D3B04072 1DCA7592
	v_mul_f32_dpp v58, v38, v34 row_newbcast:2 row_mask:0xf bank_mask:0xf// 000000004910: 0A7444FA FF015226
	v_mov_b32_e32 v59, v58                                     // 000000004918: 7E76033A
	v_pk_fma_f32 v[100:101], v[132:133], v[58:59], v[100:101]  // 00000000491C: D3B04064 1D927584
	v_pk_fma_f32 v[102:103], v[134:135], v[58:59], v[102:103]  // 000000004924: D3B04066 1D9A7586
	v_pk_fma_f32 v[116:117], v[148:149], v[58:59], v[116:117]  // 00000000492C: D3B04074 1DD27594
	v_pk_fma_f32 v[118:119], v[150:151], v[58:59], v[118:119]  // 000000004934: D3B04076 1DDA7596
	v_mul_f32_dpp v58, v38, v35 row_newbcast:2 row_mask:0xf bank_mask:0xf// 00000000493C: 0A7446FA FF015226
	v_mov_b32_e32 v59, v58                                     // 000000004944: 7E76033A
	v_pk_fma_f32 v[104:105], v[136:137], v[58:59], v[104:105]  // 000000004948: D3B04068 1DA27588
	v_pk_fma_f32 v[106:107], v[138:139], v[58:59], v[106:107]  // 000000004950: D3B0406A 1DAA758A
	v_pk_fma_f32 v[120:121], v[152:153], v[58:59], v[120:121]  // 000000004958: D3B04078 1DE27598
	v_pk_fma_f32 v[122:123], v[154:155], v[58:59], v[122:123]  // 000000004960: D3B0407A 1DEA759A
	v_mul_f32_dpp v58, v38, v36 row_newbcast:2 row_mask:0xf bank_mask:0xf// 000000004968: 0A7448FA FF015226
	v_mov_b32_e32 v59, v58                                     // 000000004970: 7E76033A
	v_pk_fma_f32 v[108:109], v[140:141], v[58:59], v[108:109]  // 000000004974: D3B0406C 1DB2758C
	v_pk_fma_f32 v[110:111], v[142:143], v[58:59], v[110:111]  // 00000000497C: D3B0406E 1DBA758E
	v_pk_fma_f32 v[124:125], v[156:157], v[58:59], v[124:125]  // 000000004984: D3B0407C 1DF2759C
	v_pk_fma_f32 v[126:127], v[158:159], v[58:59], v[126:127]  // 00000000498C: D3B0407E 1DFA759E
	s_add_u32 s56, 0x200, s76                                  // 000000004994: 80384CFF 00000200
	s_cmp_lt_u32 s56, s77                                      // 00000000499C: BF0A4D38
	s_cselect_b32 s53, s53, 0                                  // 0000000049A0: 85358035
	s_cselect_b32 s3, s3, 0                                    // 0000000049A4: 85038003
	s_add_u32 s56, 0x200, s76                                  // 0000000049A8: 80384CFF 00000200
	s_cmp_lt_u32 s56, s77                                      // 0000000049B0: BF0A4D38
	s_cselect_b32 s54, s54, 0                                  // 0000000049B4: 85368036
	s_add_u32 s20, s53, s20                                    // 0000000049B8: 80141435
	s_addc_u32 s21, 0, s21                                     // 0000000049BC: 82151580
	s_add_u32 s28, s3, s28                                     // 0000000049C0: 801C1C03
	s_addc_u32 s29, 0, s29                                     // 0000000049C4: 821D1D80
	s_add_u32 s24, s54, s24                                    // 0000000049C8: 80181836
	s_addc_u32 s25, 0, s25                                     // 0000000049CC: 82191980
	s_add_u32 s96, s94, s96                                    // 0000000049D0: 8060605E
	s_addc_u32 s97, 0, s97                                     // 0000000049D4: 82616180
	s_addk_i32 s76, 0x100                                      // 0000000049D8: B74C0100
	s_cmp_lt_i32 s76, s77                                      // 0000000049DC: BF044D4C
	s_cbranch_scc0 label_06FA                                  // 0000000049E0: BF840001
	s_branch label_03FB                                        // 0000000049E4: BF82FD01

00000000000049e8 <label_06FA>:
	s_mov_b32 s20, 0                                           // 0000000049E8: BE940080
	s_cmp_lt_u32 s93, s62                                      // 0000000049EC: BF0A3E5D
	s_cselect_b32 s56, 0, 1                                    // 0000000049F0: 85388180
	s_lshl1_add_u32 s20, s20, s56                              // 0000000049F4: 97143814
	s_cmp_lt_u32 s92, s62                                      // 0000000049F8: BF0A3E5C
	s_cselect_b32 s56, 0, 1                                    // 0000000049FC: 85388180
	s_lshl1_add_u32 s20, s20, s56                              // 000000004A00: 97143814
	s_cmp_lt_u32 s91, s62                                      // 000000004A04: BF0A3E5B
	s_cselect_b32 s56, 0, 1                                    // 000000004A08: 85388180
	s_lshl1_add_u32 s20, s20, s56                              // 000000004A0C: 97143814
	s_cmp_lt_u32 s90, s62                                      // 000000004A10: BF0A3E5A
	s_cselect_b32 s56, 0, 1                                    // 000000004A14: 85388180
	s_lshl1_add_u32 s20, s20, s56                              // 000000004A18: 97143814
	s_cmp_lt_u32 s89, s62                                      // 000000004A1C: BF0A3E59
	s_cselect_b32 s56, 0, 1                                    // 000000004A20: 85388180
	s_lshl1_add_u32 s20, s20, s56                              // 000000004A24: 97143814
	s_cmp_lt_u32 s88, s62                                      // 000000004A28: BF0A3E58
	s_cselect_b32 s56, 0, 1                                    // 000000004A2C: 85388180
	s_lshl1_add_u32 s20, s20, s56                              // 000000004A30: 97143814
	s_cmp_lt_u32 s87, s62                                      // 000000004A34: BF0A3E57
	s_cselect_b32 s56, 0, 1                                    // 000000004A38: 85388180
	s_lshl1_add_u32 s20, s20, s56                              // 000000004A3C: 97143814
	s_cmp_lt_u32 s86, s62                                      // 000000004A40: BF0A3E56
	s_cselect_b32 s56, 0, 1                                    // 000000004A44: 85388180
	s_lshl1_add_u32 s20, s20, s56                              // 000000004A48: 97143814
	s_cmp_lt_u32 s85, s62                                      // 000000004A4C: BF0A3E55
	s_cselect_b32 s56, 0, 1                                    // 000000004A50: 85388180
	s_lshl1_add_u32 s20, s20, s56                              // 000000004A54: 97143814
	s_cmp_lt_u32 s84, s62                                      // 000000004A58: BF0A3E54
	s_cselect_b32 s56, 0, 1                                    // 000000004A5C: 85388180
	s_lshl1_add_u32 s20, s20, s56                              // 000000004A60: 97143814
	s_cmp_lt_u32 s83, s62                                      // 000000004A64: BF0A3E53
	s_cselect_b32 s56, 0, 1                                    // 000000004A68: 85388180
	s_lshl1_add_u32 s20, s20, s56                              // 000000004A6C: 97143814
	s_cmp_lt_u32 s82, s62                                      // 000000004A70: BF0A3E52
	s_cselect_b32 s56, 0, 1                                    // 000000004A74: 85388180
	s_lshl1_add_u32 s20, s20, s56                              // 000000004A78: 97143814
	s_cmp_lt_u32 s81, s62                                      // 000000004A7C: BF0A3E51
	s_cselect_b32 s56, 0, 1                                    // 000000004A80: 85388180
	s_lshl1_add_u32 s20, s20, s56                              // 000000004A84: 97143814
	s_cmp_lt_u32 s80, s62                                      // 000000004A88: BF0A3E50
	s_cselect_b32 s56, 0, 1                                    // 000000004A8C: 85388180
	s_lshl1_add_u32 s20, s20, s56                              // 000000004A90: 97143814
	s_cmp_lt_u32 s79, s62                                      // 000000004A94: BF0A3E4F
	s_cselect_b32 s56, 0, 1                                    // 000000004A98: 85388180
	s_lshl1_add_u32 s20, s20, s56                              // 000000004A9C: 97143814
	s_cmp_lt_u32 s78, s62                                      // 000000004AA0: BF0A3E4E
	s_cselect_b32 s56, 0, 1                                    // 000000004AA4: 85388180
	s_lshl1_add_u32 s20, s20, s56                              // 000000004AA8: 97143814
	s_waitcnt vmcnt(4)                                         // 000000004AAC: BF8C0F74
	buffer_load_dwordx4 a[0:3], v49, s[12:15], 0 offen         // 000000004AB0: E05C1000 80830031
	v_mul_f32_e64 v58, -v64, s6                                // 000000004AB8: D105003A 20000D40
	v_mul_f32_e64 v59, -v65, s6                                // 000000004AC0: D105003B 20000D41
	v_mul_f32_e64 v60, -v66, s6                                // 000000004AC8: D105003C 20000D42
	v_mul_f32_e64 v61, -v67, s6                                // 000000004AD0: D105003D 20000D43
	v_exp_f32_e32 v58, v58                                     // 000000004AD8: 7E74413A
	v_exp_f32_e32 v59, v59                                     // 000000004ADC: 7E76413B
	v_exp_f32_e32 v60, v60                                     // 000000004AE0: 7E78413C
	v_exp_f32_e32 v61, v61                                     // 000000004AE4: 7E7A413D
	buffer_load_dwordx4 a[4:7], v49, s[12:15], 0 offen offset:1024// 000000004AE8: E05C1400 80830431
	v_add_f32_e64 v58, v58, 1.0                                // 000000004AF0: D101003A 0001E53A
	v_add_f32_e64 v59, v59, 1.0                                // 000000004AF8: D101003B 0001E53B
	v_add_f32_e64 v60, v60, 1.0                                // 000000004B00: D101003C 0001E53C
	v_add_f32_e64 v61, v61, 1.0                                // 000000004B08: D101003D 0001E53D
	v_rcp_f32_e32 v58, v58                                     // 000000004B10: 7E74453A
	v_rcp_f32_e32 v59, v59                                     // 000000004B14: 7E76453B
	v_rcp_f32_e32 v60, v60                                     // 000000004B18: 7E78453C
	v_rcp_f32_e32 v61, v61                                     // 000000004B1C: 7E7A453D
	v_mul_f32_e32 v64, v64, v58                                // 000000004B20: 0A807540
	v_mul_f32_e32 v65, v65, v59                                // 000000004B24: 0A827741
	v_mul_f32_e32 v66, v66, v60                                // 000000004B28: 0A847942
	v_mul_f32_e32 v67, v67, v61                                // 000000004B2C: 0A867B43
	v_mul_f32_e32 v64, v64, v96                                // 000000004B30: 0A80C140
	v_mul_f32_e32 v65, v65, v97                                // 000000004B34: 0A82C341
	v_mul_f32_e32 v66, v66, v98                                // 000000004B38: 0A84C542
	v_mul_f32_e32 v67, v67, v99                                // 000000004B3C: 0A86C743
	buffer_load_dwordx4 a[8:11], v50, s[12:15], 0 offen        // 000000004B40: E05C1000 80830832
	v_mul_f32_e64 v58, -v68, s6                                // 000000004B48: D105003A 20000D44
	v_mul_f32_e64 v59, -v69, s6                                // 000000004B50: D105003B 20000D45
	v_mul_f32_e64 v60, -v70, s6                                // 000000004B58: D105003C 20000D46
	v_mul_f32_e64 v61, -v71, s6                                // 000000004B60: D105003D 20000D47
	v_exp_f32_e32 v58, v58                                     // 000000004B68: 7E74413A
	v_exp_f32_e32 v59, v59                                     // 000000004B6C: 7E76413B
	v_exp_f32_e32 v60, v60                                     // 000000004B70: 7E78413C
	v_exp_f32_e32 v61, v61                                     // 000000004B74: 7E7A413D
	buffer_load_dwordx4 a[12:15], v50, s[12:15], 0 offen offset:1024// 000000004B78: E05C1400 80830C32
	v_add_f32_e64 v58, v58, 1.0                                // 000000004B80: D101003A 0001E53A
	v_add_f32_e64 v59, v59, 1.0                                // 000000004B88: D101003B 0001E53B
	v_add_f32_e64 v60, v60, 1.0                                // 000000004B90: D101003C 0001E53C
	v_add_f32_e64 v61, v61, 1.0                                // 000000004B98: D101003D 0001E53D
	v_rcp_f32_e32 v58, v58                                     // 000000004BA0: 7E74453A
	v_rcp_f32_e32 v59, v59                                     // 000000004BA4: 7E76453B
	v_rcp_f32_e32 v60, v60                                     // 000000004BA8: 7E78453C
	v_rcp_f32_e32 v61, v61                                     // 000000004BAC: 7E7A453D
	v_mul_f32_e32 v68, v68, v58                                // 000000004BB0: 0A887544
	v_mul_f32_e32 v69, v69, v59                                // 000000004BB4: 0A8A7745
	v_mul_f32_e32 v70, v70, v60                                // 000000004BB8: 0A8C7946
	v_mul_f32_e32 v71, v71, v61                                // 000000004BBC: 0A8E7B47
	v_mul_f32_e32 v68, v68, v100                               // 000000004BC0: 0A88C944
	v_mul_f32_e32 v69, v69, v101                               // 000000004BC4: 0A8ACB45
	v_mul_f32_e32 v70, v70, v102                               // 000000004BC8: 0A8CCD46
	v_mul_f32_e32 v71, v71, v103                               // 000000004BCC: 0A8ECF47
	s_waitcnt vmcnt(4)                                         // 000000004BD0: BF8C0F74
	buffer_load_dwordx4 a[16:19], v51, s[12:15], 0 offen       // 000000004BD4: E05C1000 80831033
	v_mul_f32_e64 v58, -v72, s6                                // 000000004BDC: D105003A 20000D48
	v_mul_f32_e64 v59, -v73, s6                                // 000000004BE4: D105003B 20000D49
	v_mul_f32_e64 v60, -v74, s6                                // 000000004BEC: D105003C 20000D4A
	v_mul_f32_e64 v61, -v75, s6                                // 000000004BF4: D105003D 20000D4B
	v_exp_f32_e32 v58, v58                                     // 000000004BFC: 7E74413A
	v_exp_f32_e32 v59, v59                                     // 000000004C00: 7E76413B
	v_exp_f32_e32 v60, v60                                     // 000000004C04: 7E78413C
	v_exp_f32_e32 v61, v61                                     // 000000004C08: 7E7A413D
	buffer_load_dwordx4 a[20:23], v51, s[12:15], 0 offen offset:1024// 000000004C0C: E05C1400 80831433
	v_add_f32_e64 v58, v58, 1.0                                // 000000004C14: D101003A 0001E53A
	v_add_f32_e64 v59, v59, 1.0                                // 000000004C1C: D101003B 0001E53B
	v_add_f32_e64 v60, v60, 1.0                                // 000000004C24: D101003C 0001E53C
	v_add_f32_e64 v61, v61, 1.0                                // 000000004C2C: D101003D 0001E53D
	v_rcp_f32_e32 v58, v58                                     // 000000004C34: 7E74453A
	v_rcp_f32_e32 v59, v59                                     // 000000004C38: 7E76453B
	v_rcp_f32_e32 v60, v60                                     // 000000004C3C: 7E78453C
	v_rcp_f32_e32 v61, v61                                     // 000000004C40: 7E7A453D
	v_mul_f32_e32 v72, v72, v58                                // 000000004C44: 0A907548
	v_mul_f32_e32 v73, v73, v59                                // 000000004C48: 0A927749
	v_mul_f32_e32 v74, v74, v60                                // 000000004C4C: 0A94794A
	v_mul_f32_e32 v75, v75, v61                                // 000000004C50: 0A967B4B
	v_mul_f32_e32 v72, v72, v104                               // 000000004C54: 0A90D148
	v_mul_f32_e32 v73, v73, v105                               // 000000004C58: 0A92D349
	v_mul_f32_e32 v74, v74, v106                               // 000000004C5C: 0A94D54A
	v_mul_f32_e32 v75, v75, v107                               // 000000004C60: 0A96D74B
	buffer_load_dwordx4 a[24:27], v52, s[12:15], 0 offen       // 000000004C64: E05C1000 80831834
	v_mul_f32_e64 v58, -v76, s6                                // 000000004C6C: D105003A 20000D4C
	v_mul_f32_e64 v59, -v77, s6                                // 000000004C74: D105003B 20000D4D
	v_mul_f32_e64 v60, -v78, s6                                // 000000004C7C: D105003C 20000D4E
	v_mul_f32_e64 v61, -v79, s6                                // 000000004C84: D105003D 20000D4F
	v_exp_f32_e32 v58, v58                                     // 000000004C8C: 7E74413A
	v_exp_f32_e32 v59, v59                                     // 000000004C90: 7E76413B
	v_exp_f32_e32 v60, v60                                     // 000000004C94: 7E78413C
	v_exp_f32_e32 v61, v61                                     // 000000004C98: 7E7A413D
	buffer_load_dwordx4 a[28:31], v52, s[12:15], 0 offen offset:1024// 000000004C9C: E05C1400 80831C34
	v_add_f32_e64 v58, v58, 1.0                                // 000000004CA4: D101003A 0001E53A
	v_add_f32_e64 v59, v59, 1.0                                // 000000004CAC: D101003B 0001E53B
	v_add_f32_e64 v60, v60, 1.0                                // 000000004CB4: D101003C 0001E53C
	v_add_f32_e64 v61, v61, 1.0                                // 000000004CBC: D101003D 0001E53D
	v_rcp_f32_e32 v58, v58                                     // 000000004CC4: 7E74453A
	v_rcp_f32_e32 v59, v59                                     // 000000004CC8: 7E76453B
	v_rcp_f32_e32 v60, v60                                     // 000000004CCC: 7E78453C
	v_rcp_f32_e32 v61, v61                                     // 000000004CD0: 7E7A453D
	v_mul_f32_e32 v76, v76, v58                                // 000000004CD4: 0A98754C
	v_mul_f32_e32 v77, v77, v59                                // 000000004CD8: 0A9A774D
	v_mul_f32_e32 v78, v78, v60                                // 000000004CDC: 0A9C794E
	v_mul_f32_e32 v79, v79, v61                                // 000000004CE0: 0A9E7B4F
	v_mul_f32_e32 v76, v76, v108                               // 000000004CE4: 0A98D94C
	v_mul_f32_e32 v77, v77, v109                               // 000000004CE8: 0A9ADB4D
	v_mul_f32_e32 v78, v78, v110                               // 000000004CEC: 0A9CDD4E
	v_mul_f32_e32 v79, v79, v111                               // 000000004CF0: 0A9EDF4F
	s_waitcnt vmcnt(4)                                         // 000000004CF4: BF8C0F74
	v_mul_f32_e64 v58, -v80, s6                                // 000000004CF8: D105003A 20000D50
	v_mul_f32_e64 v59, -v81, s6                                // 000000004D00: D105003B 20000D51
	v_mul_f32_e64 v60, -v82, s6                                // 000000004D08: D105003C 20000D52
	v_mul_f32_e64 v61, -v83, s6                                // 000000004D10: D105003D 20000D53
	v_exp_f32_e32 v58, v58                                     // 000000004D18: 7E74413A
	v_exp_f32_e32 v59, v59                                     // 000000004D1C: 7E76413B
	v_exp_f32_e32 v60, v60                                     // 000000004D20: 7E78413C
	v_exp_f32_e32 v61, v61                                     // 000000004D24: 7E7A413D
	v_add_f32_e64 v58, v58, 1.0                                // 000000004D28: D101003A 0001E53A
	v_add_f32_e64 v59, v59, 1.0                                // 000000004D30: D101003B 0001E53B
	v_add_f32_e64 v60, v60, 1.0                                // 000000004D38: D101003C 0001E53C
	v_add_f32_e64 v61, v61, 1.0                                // 000000004D40: D101003D 0001E53D
	v_rcp_f32_e32 v58, v58                                     // 000000004D48: 7E74453A
	v_rcp_f32_e32 v59, v59                                     // 000000004D4C: 7E76453B
	v_rcp_f32_e32 v60, v60                                     // 000000004D50: 7E78453C
	v_rcp_f32_e32 v61, v61                                     // 000000004D54: 7E7A453D
	v_mul_f32_e32 v80, v80, v58                                // 000000004D58: 0AA07550
	v_mul_f32_e32 v81, v81, v59                                // 000000004D5C: 0AA27751
	v_mul_f32_e32 v82, v82, v60                                // 000000004D60: 0AA47952
	v_mul_f32_e32 v83, v83, v61                                // 000000004D64: 0AA67B53
	v_mul_f32_e32 v80, v80, v112                               // 000000004D68: 0AA0E150
	v_mul_f32_e32 v81, v81, v113                               // 000000004D6C: 0AA2E351
	v_mul_f32_e32 v82, v82, v114                               // 000000004D70: 0AA4E552
	v_mul_f32_e32 v83, v83, v115                               // 000000004D74: 0AA6E753
	v_mul_f32_e64 v58, -v84, s6                                // 000000004D78: D105003A 20000D54
	v_mul_f32_e64 v59, -v85, s6                                // 000000004D80: D105003B 20000D55
	v_mul_f32_e64 v60, -v86, s6                                // 000000004D88: D105003C 20000D56
	v_mul_f32_e64 v61, -v87, s6                                // 000000004D90: D105003D 20000D57
	v_exp_f32_e32 v58, v58                                     // 000000004D98: 7E74413A
	v_exp_f32_e32 v59, v59                                     // 000000004D9C: 7E76413B
	v_exp_f32_e32 v60, v60                                     // 000000004DA0: 7E78413C
	v_exp_f32_e32 v61, v61                                     // 000000004DA4: 7E7A413D
	v_add_f32_e64 v58, v58, 1.0                                // 000000004DA8: D101003A 0001E53A
	v_add_f32_e64 v59, v59, 1.0                                // 000000004DB0: D101003B 0001E53B
	v_add_f32_e64 v60, v60, 1.0                                // 000000004DB8: D101003C 0001E53C
	v_add_f32_e64 v61, v61, 1.0                                // 000000004DC0: D101003D 0001E53D
	v_rcp_f32_e32 v58, v58                                     // 000000004DC8: 7E74453A
	v_rcp_f32_e32 v59, v59                                     // 000000004DCC: 7E76453B
	v_rcp_f32_e32 v60, v60                                     // 000000004DD0: 7E78453C
	v_rcp_f32_e32 v61, v61                                     // 000000004DD4: 7E7A453D
	v_mul_f32_e32 v84, v84, v58                                // 000000004DD8: 0AA87554
	v_mul_f32_e32 v85, v85, v59                                // 000000004DDC: 0AAA7755
	v_mul_f32_e32 v86, v86, v60                                // 000000004DE0: 0AAC7956
	v_mul_f32_e32 v87, v87, v61                                // 000000004DE4: 0AAE7B57
	v_mul_f32_e32 v84, v84, v116                               // 000000004DE8: 0AA8E954
	v_mul_f32_e32 v85, v85, v117                               // 000000004DEC: 0AAAEB55
	v_mul_f32_e32 v86, v86, v118                               // 000000004DF0: 0AACED56
	v_mul_f32_e32 v87, v87, v119                               // 000000004DF4: 0AAEEF57
	s_waitcnt vmcnt(4)                                         // 000000004DF8: BF8C0F74
	v_mul_f32_e64 v58, -v88, s6                                // 000000004DFC: D105003A 20000D58
	v_mul_f32_e64 v59, -v89, s6                                // 000000004E04: D105003B 20000D59
	v_mul_f32_e64 v60, -v90, s6                                // 000000004E0C: D105003C 20000D5A
	v_mul_f32_e64 v61, -v91, s6                                // 000000004E14: D105003D 20000D5B
	v_exp_f32_e32 v58, v58                                     // 000000004E1C: 7E74413A
	v_exp_f32_e32 v59, v59                                     // 000000004E20: 7E76413B
	v_exp_f32_e32 v60, v60                                     // 000000004E24: 7E78413C
	v_exp_f32_e32 v61, v61                                     // 000000004E28: 7E7A413D
	v_add_f32_e64 v58, v58, 1.0                                // 000000004E2C: D101003A 0001E53A
	v_add_f32_e64 v59, v59, 1.0                                // 000000004E34: D101003B 0001E53B
	v_add_f32_e64 v60, v60, 1.0                                // 000000004E3C: D101003C 0001E53C
	v_add_f32_e64 v61, v61, 1.0                                // 000000004E44: D101003D 0001E53D
	v_rcp_f32_e32 v58, v58                                     // 000000004E4C: 7E74453A
	v_rcp_f32_e32 v59, v59                                     // 000000004E50: 7E76453B
	v_rcp_f32_e32 v60, v60                                     // 000000004E54: 7E78453C
	v_rcp_f32_e32 v61, v61                                     // 000000004E58: 7E7A453D
	v_mul_f32_e32 v88, v88, v58                                // 000000004E5C: 0AB07558
	v_mul_f32_e32 v89, v89, v59                                // 000000004E60: 0AB27759
	v_mul_f32_e32 v90, v90, v60                                // 000000004E64: 0AB4795A
	v_mul_f32_e32 v91, v91, v61                                // 000000004E68: 0AB67B5B
	v_mul_f32_e32 v88, v88, v120                               // 000000004E6C: 0AB0F158
	v_mul_f32_e32 v89, v89, v121                               // 000000004E70: 0AB2F359
	v_mul_f32_e32 v90, v90, v122                               // 000000004E74: 0AB4F55A
	v_mul_f32_e32 v91, v91, v123                               // 000000004E78: 0AB6F75B
	v_mul_f32_e64 v58, -v92, s6                                // 000000004E7C: D105003A 20000D5C
	v_mul_f32_e64 v59, -v93, s6                                // 000000004E84: D105003B 20000D5D
	v_mul_f32_e64 v60, -v94, s6                                // 000000004E8C: D105003C 20000D5E
	v_mul_f32_e64 v61, -v95, s6                                // 000000004E94: D105003D 20000D5F
	v_exp_f32_e32 v58, v58                                     // 000000004E9C: 7E74413A
	v_exp_f32_e32 v59, v59                                     // 000000004EA0: 7E76413B
	v_exp_f32_e32 v60, v60                                     // 000000004EA4: 7E78413C
	v_exp_f32_e32 v61, v61                                     // 000000004EA8: 7E7A413D
	v_add_f32_e64 v58, v58, 1.0                                // 000000004EAC: D101003A 0001E53A
	v_add_f32_e64 v59, v59, 1.0                                // 000000004EB4: D101003B 0001E53B
	v_add_f32_e64 v60, v60, 1.0                                // 000000004EBC: D101003C 0001E53C
	v_add_f32_e64 v61, v61, 1.0                                // 000000004EC4: D101003D 0001E53D
	v_rcp_f32_e32 v58, v58                                     // 000000004ECC: 7E74453A
	v_rcp_f32_e32 v59, v59                                     // 000000004ED0: 7E76453B
	v_rcp_f32_e32 v60, v60                                     // 000000004ED4: 7E78453C
	v_rcp_f32_e32 v61, v61                                     // 000000004ED8: 7E7A453D
	v_mul_f32_e32 v92, v92, v58                                // 000000004EDC: 0AB8755C
	v_mul_f32_e32 v93, v93, v59                                // 000000004EE0: 0ABA775D
	v_mul_f32_e32 v94, v94, v60                                // 000000004EE4: 0ABC795E
	v_mul_f32_e32 v95, v95, v61                                // 000000004EE8: 0ABE7B5F
	v_mul_f32_e32 v92, v92, v124                               // 000000004EEC: 0AB8F95C
	v_mul_f32_e32 v93, v93, v125                               // 000000004EF0: 0ABAFB5D
	v_mul_f32_e32 v94, v94, v126                               // 000000004EF4: 0ABCFD5E
	v_mul_f32_e32 v95, v95, v127                               // 000000004EF8: 0ABEFF5F
	buffer_load_dword v37, v8, s[16:19], 0 offen               // 000000004EFC: E0501000 80042508
	v_mov_b32_e32 v128, 0x358637bd                             // 000000004F04: 7F0002FF 358637BD
	v_mov_b32_e32 v129, 0x358637bd                             // 000000004F0C: 7F0202FF 358637BD
	v_mov_b32_e32 v130, 0x358637bd                             // 000000004F14: 7F0402FF 358637BD
	v_mov_b32_e32 v131, 0x358637bd                             // 000000004F1C: 7F0602FF 358637BD
	v_max3_f32 v128, |v64|, |v65|, v128                        // 000000004F24: D1D30380 06028340
	v_max3_f32 v128, |v66|, |v67|, v128                        // 000000004F2C: D1D30380 06028742
	v_max3_f32 v129, |v68|, |v69|, v129                        // 000000004F34: D1D30381 06068B44
	v_max3_f32 v129, |v70|, |v71|, v129                        // 000000004F3C: D1D30381 06068F46
	v_max3_f32 v130, |v72|, |v73|, v130                        // 000000004F44: D1D30382 060A9348
	v_max3_f32 v130, |v74|, |v75|, v130                        // 000000004F4C: D1D30382 060A974A
	v_max3_f32 v131, |v76|, |v77|, v131                        // 000000004F54: D1D30383 060E9B4C
	v_max3_f32 v131, |v78|, |v79|, v131                        // 000000004F5C: D1D30383 060E9F4E
	v_max3_f32 v128, |v80|, |v81|, v128                        // 000000004F64: D1D30380 0602A350
	v_max3_f32 v128, |v82|, |v83|, v128                        // 000000004F6C: D1D30380 0602A752
	v_max3_f32 v129, |v84|, |v85|, v129                        // 000000004F74: D1D30381 0606AB54
	v_max3_f32 v129, |v86|, |v87|, v129                        // 000000004F7C: D1D30381 0606AF56
	v_max3_f32 v130, |v88|, |v89|, v130                        // 000000004F84: D1D30382 060AB358
	v_max3_f32 v130, |v90|, |v91|, v130                        // 000000004F8C: D1D30382 060AB75A
	v_max3_f32 v131, |v92|, |v93|, v131                        // 000000004F94: D1D30383 060EBB5C
	v_max3_f32 v131, |v94|, |v95|, v131                        // 000000004F9C: D1D30383 060EBF5E
	v_mov_b32_e32 v58, v128                                    // 000000004FA4: 7E740380
	s_nop 1                                                    // 000000004FA8: BF800001
	v_permlane32_swap_b32_e32 v58, v128                        // 000000004FAC: 7E74B580
	v_max_f32_e32 v128, v58, v128                              // 000000004FB0: 1701013A
	v_mov_b32_e32 v58, v128                                    // 000000004FB4: 7E740380
	s_nop 1                                                    // 000000004FB8: BF800001
	v_permlane16_swap_b32_e32 v58, v128                        // 000000004FBC: 7E74B380
	v_max_f32_e32 v128, v58, v128                              // 000000004FC0: 1701013A
	v_mov_b32_e32 v58, v129                                    // 000000004FC4: 7E740381
	s_nop 1                                                    // 000000004FC8: BF800001
	v_permlane32_swap_b32_e32 v58, v129                        // 000000004FCC: 7E74B581
	v_max_f32_e32 v129, v58, v129                              // 000000004FD0: 1703033A
	v_mov_b32_e32 v58, v129                                    // 000000004FD4: 7E740381
	s_nop 1                                                    // 000000004FD8: BF800001
	v_permlane16_swap_b32_e32 v58, v129                        // 000000004FDC: 7E74B381
	v_max_f32_e32 v129, v58, v129                              // 000000004FE0: 1703033A
	v_mov_b32_e32 v58, v130                                    // 000000004FE4: 7E740382
	s_nop 1                                                    // 000000004FE8: BF800001
	v_permlane32_swap_b32_e32 v58, v130                        // 000000004FEC: 7E74B582
	v_max_f32_e32 v130, v58, v130                              // 000000004FF0: 1705053A
	v_mov_b32_e32 v58, v130                                    // 000000004FF4: 7E740382
	s_nop 1                                                    // 000000004FF8: BF800001
	v_permlane16_swap_b32_e32 v58, v130                        // 000000004FFC: 7E74B382
	v_max_f32_e32 v130, v58, v130                              // 000000005000: 1705053A
	v_mov_b32_e32 v58, v131                                    // 000000005004: 7E740383
	s_nop 1                                                    // 000000005008: BF800001
	v_permlane32_swap_b32_e32 v58, v131                        // 00000000500C: 7E74B583
	v_max_f32_e32 v131, v58, v131                              // 000000005010: 1707073A
	v_mov_b32_e32 v58, v131                                    // 000000005014: 7E740383
	s_nop 1                                                    // 000000005018: BF800001
	v_permlane16_swap_b32_e32 v58, v131                        // 00000000501C: 7E74B383
	v_max_f32_e32 v131, v58, v131                              // 000000005020: 1707073A
	v_lshlrev_b32_e32 v58, 2, v0                               // 000000005024: 24740082
	s_mul_i32 s56, 64, s7                                      // 000000005028: 923807C0
	v_add_u32_e32 v58, s56, v58                                // 00000000502C: 68747438
	s_mov_b32 s56, 0xffff                                      // 000000005030: BEB800FF 0000FFFF
	s_mov_b32 s57, 0                                           // 000000005038: BEB90080
	s_mov_b64 exec, s[56:57]                                   // 00000000503C: BEFE0138
	ds_write_b32 v58, v128 offset:37888                        // 000000005040: D81A9400 0000803A
	ds_write_b32 v58, v129 offset:38144                        // 000000005048: D81A9500 0000813A
	ds_write_b32 v58, v130 offset:38400                        // 000000005050: D81A9600 0000823A
	ds_write_b32 v58, v131 offset:38656                        // 000000005058: D81A9700 0000833A
	s_mov_b32 s56, -1                                          // 000000005060: BEB800C1
	s_mov_b32 s57, -1                                          // 000000005064: BEB900C1
	s_mov_b64 exec, s[56:57]                                   // 000000005068: BEFE0138
	s_waitcnt lgkmcnt(0)                                       // 00000000506C: BF8CC07F
	s_barrier                                                  // 000000005070: BF8A0000
	v_lshlrev_b32_e32 v58, 2, v0                               // 000000005074: 24740082
	ds_read_b32 v252, v58 offset:37888                         // 000000005078: D86C9400 FC00003A
	ds_read_b32 v253, v58 offset:38144                         // 000000005080: D86C9500 FD00003A
	ds_read_b32 v254, v58 offset:38400                         // 000000005088: D86C9600 FE00003A
	ds_read_b32 v255, v58 offset:38656                         // 000000005090: D86C9700 FF00003A
	s_waitcnt lgkmcnt(0)                                       // 000000005098: BF8CC07F
	v_mov_b32_e32 v58, v252                                    // 00000000509C: 7E7403FC
	s_nop 1                                                    // 0000000050A0: BF800001
	v_permlane32_swap_b32_e32 v58, v252                        // 0000000050A4: 7E74B5FC
	v_max_f32_e32 v252, v58, v252                              // 0000000050A8: 17F9F93A
	v_mov_b32_e32 v58, v252                                    // 0000000050AC: 7E7403FC
	s_nop 1                                                    // 0000000050B0: BF800001
	v_permlane16_swap_b32_e32 v58, v252                        // 0000000050B4: 7E74B3FC
	v_max_f32_e32 v252, v58, v252                              // 0000000050B8: 17F9F93A
	v_mov_b32_e32 v58, v253                                    // 0000000050BC: 7E7403FD
	s_nop 1                                                    // 0000000050C0: BF800001
	v_permlane32_swap_b32_e32 v58, v253                        // 0000000050C4: 7E74B5FD
	v_max_f32_e32 v253, v58, v253                              // 0000000050C8: 17FBFB3A
	v_mov_b32_e32 v58, v253                                    // 0000000050CC: 7E7403FD
	s_nop 1                                                    // 0000000050D0: BF800001
	v_permlane16_swap_b32_e32 v58, v253                        // 0000000050D4: 7E74B3FD
	v_max_f32_e32 v253, v58, v253                              // 0000000050D8: 17FBFB3A
	v_mov_b32_e32 v58, v254                                    // 0000000050DC: 7E7403FE
	s_nop 1                                                    // 0000000050E0: BF800001
	v_permlane32_swap_b32_e32 v58, v254                        // 0000000050E4: 7E74B5FE
	v_max_f32_e32 v254, v58, v254                              // 0000000050E8: 17FDFD3A
	v_mov_b32_e32 v58, v254                                    // 0000000050EC: 7E7403FE
	s_nop 1                                                    // 0000000050F0: BF800001
	v_permlane16_swap_b32_e32 v58, v254                        // 0000000050F4: 7E74B3FE
	v_max_f32_e32 v254, v58, v254                              // 0000000050F8: 17FDFD3A
	v_mov_b32_e32 v58, v255                                    // 0000000050FC: 7E7403FF
	s_nop 1                                                    // 000000005100: BF800001
	v_permlane32_swap_b32_e32 v58, v255                        // 000000005104: 7E74B5FF
	v_max_f32_e32 v255, v58, v255                              // 000000005108: 17FFFF3A
	v_mov_b32_e32 v58, v255                                    // 00000000510C: 7E7403FF
	s_nop 1                                                    // 000000005110: BF800001
	v_permlane16_swap_b32_e32 v58, v255                        // 000000005114: 7E74B3FF
	v_max_f32_e32 v255, v58, v255                              // 000000005118: 17FFFF3A
	v_max_f32_e32 v128, v252, v128                             // 00000000511C: 170101FC
	v_max_f32_e32 v129, v253, v129                             // 000000005120: 170303FD
	v_max_f32_e32 v130, v254, v130                             // 000000005124: 170505FE
	v_max_f32_e32 v131, v255, v131                             // 000000005128: 170707FF
	v_rcp_f32_e32 v128, v128                                   // 00000000512C: 7F004580
	v_rcp_f32_e32 v129, v129                                   // 000000005130: 7F024581
	v_rcp_f32_e32 v130, v130                                   // 000000005134: 7F044582
	v_rcp_f32_e32 v131, v131                                   // 000000005138: 7F064583
	v_mov_b32_e32 v58, 0x43e00000                              // 00000000513C: 7E7402FF 43E00000
	v_mul_f32_e32 v128, v58, v128                              // 000000005144: 0B01013A
	v_mul_f32_e32 v129, v58, v129                              // 000000005148: 0B03033A
	v_mul_f32_e32 v130, v58, v130                              // 00000000514C: 0B05053A
	v_mul_f32_e32 v131, v58, v131                              // 000000005150: 0B07073A
	v_mul_f32_e32 v64, v128, v64                               // 000000005154: 0A808180
	v_mul_f32_e32 v65, v128, v65                               // 000000005158: 0A828380
	v_mul_f32_e32 v66, v128, v66                               // 00000000515C: 0A848580
	v_mul_f32_e32 v67, v128, v67                               // 000000005160: 0A868780
	v_cvt_pk_fp8_f32 v64, v64, v65                             // 000000005164: D2A20040 00028340
	v_cvt_pk_fp8_f32 v64, v66, v67 op_sel:[0,0,1]              // 00000000516C: D2A24040 00028742
	v_mul_f32_e32 v68, v129, v68                               // 000000005174: 0A888981
	v_mul_f32_e32 v69, v129, v69                               // 000000005178: 0A8A8B81
	v_mul_f32_e32 v70, v129, v70                               // 00000000517C: 0A8C8D81
	v_mul_f32_e32 v71, v129, v71                               // 000000005180: 0A8E8F81
	v_cvt_pk_fp8_f32 v65, v68, v69                             // 000000005184: D2A20041 00028B44
	v_cvt_pk_fp8_f32 v65, v70, v71 op_sel:[0,0,1]              // 00000000518C: D2A24041 00028F46
	v_mul_f32_e32 v72, v130, v72                               // 000000005194: 0A909182
	v_mul_f32_e32 v73, v130, v73                               // 000000005198: 0A929382
	v_mul_f32_e32 v74, v130, v74                               // 00000000519C: 0A949582
	v_mul_f32_e32 v75, v130, v75                               // 0000000051A0: 0A969782
	v_cvt_pk_fp8_f32 v66, v72, v73                             // 0000000051A4: D2A20042 00029348
	v_cvt_pk_fp8_f32 v66, v74, v75 op_sel:[0,0,1]              // 0000000051AC: D2A24042 0002974A
	v_mul_f32_e32 v76, v131, v76                               // 0000000051B4: 0A989983
	v_mul_f32_e32 v77, v131, v77                               // 0000000051B8: 0A9A9B83
	v_mul_f32_e32 v78, v131, v78                               // 0000000051BC: 0A9C9D83
	v_mul_f32_e32 v79, v131, v79                               // 0000000051C0: 0A9E9F83
	v_cvt_pk_fp8_f32 v67, v76, v77                             // 0000000051C4: D2A20043 00029B4C
	v_cvt_pk_fp8_f32 v67, v78, v79 op_sel:[0,0,1]              // 0000000051CC: D2A24043 00029F4E
	v_mul_f32_e32 v80, v128, v80                               // 0000000051D4: 0AA0A180
	v_mul_f32_e32 v81, v128, v81                               // 0000000051D8: 0AA2A380
	v_mul_f32_e32 v82, v128, v82                               // 0000000051DC: 0AA4A580
	v_mul_f32_e32 v83, v128, v83                               // 0000000051E0: 0AA6A780
	v_cvt_pk_fp8_f32 v68, v80, v81                             // 0000000051E4: D2A20044 0002A350
	v_cvt_pk_fp8_f32 v68, v82, v83 op_sel:[0,0,1]              // 0000000051EC: D2A24044 0002A752
	v_mul_f32_e32 v84, v129, v84                               // 0000000051F4: 0AA8A981
	v_mul_f32_e32 v85, v129, v85                               // 0000000051F8: 0AAAAB81
	v_mul_f32_e32 v86, v129, v86                               // 0000000051FC: 0AACAD81
	v_mul_f32_e32 v87, v129, v87                               // 000000005200: 0AAEAF81
	v_cvt_pk_fp8_f32 v69, v84, v85                             // 000000005204: D2A20045 0002AB54
	v_cvt_pk_fp8_f32 v69, v86, v87 op_sel:[0,0,1]              // 00000000520C: D2A24045 0002AF56
	v_mul_f32_e32 v88, v130, v88                               // 000000005214: 0AB0B182
	v_mul_f32_e32 v89, v130, v89                               // 000000005218: 0AB2B382
	v_mul_f32_e32 v90, v130, v90                               // 00000000521C: 0AB4B582
	v_mul_f32_e32 v91, v130, v91                               // 000000005220: 0AB6B782
	v_cvt_pk_fp8_f32 v70, v88, v89                             // 000000005224: D2A20046 0002B358
	v_cvt_pk_fp8_f32 v70, v90, v91 op_sel:[0,0,1]              // 00000000522C: D2A24046 0002B75A
	v_mul_f32_e32 v92, v131, v92                               // 000000005234: 0AB8B983
	v_mul_f32_e32 v93, v131, v93                               // 000000005238: 0ABABB83
	v_mul_f32_e32 v94, v131, v94                               // 00000000523C: 0ABCBD83
	v_mul_f32_e32 v95, v131, v95                               // 000000005240: 0ABEBF83
	v_cvt_pk_fp8_f32 v71, v92, v93                             // 000000005244: D2A20047 0002BB5C
	v_cvt_pk_fp8_f32 v71, v94, v95 op_sel:[0,0,1]              // 00000000524C: D2A24047 0002BF5E
	v_rcp_f32_e32 v21, v128                                    // 000000005254: 7E2A4580
	v_rcp_f32_e32 v22, v129                                    // 000000005258: 7E2C4581
	v_rcp_f32_e32 v23, v130                                    // 00000000525C: 7E2E4582
	v_rcp_f32_e32 v24, v131                                    // 000000005260: 7E304583
	v_lshrrev_b32_e32 v58, 5, v0                               // 000000005264: 20740085
	v_lshlrev_b32_e32 v59, 6, v58                              // 000000005268: 24767486
	v_and_b32_e32 v58, 31, v0                                  // 00000000526C: 2674009F
	v_lshrrev_b32_e32 v60, 4, v58                              // 000000005270: 20787484
	v_add_u32_e32 v59, v60, v59                                // 000000005274: 6876773C
	v_and_b32_e32 v58, 15, v0                                  // 000000005278: 2674008F
	v_lshlrev_b32_e32 v58, 1, v58                              // 00000000527C: 24747481
	v_add_u32_e32 v59, v58, v59                                // 000000005280: 6876773A
	v_lshlrev_b32_e32 v58, 2, v59                              // 000000005284: 24747682
	s_mov_b32 s56, 0                                           // 000000005288: BEB80080
	s_lshr_b32 s57, s7, 1                                      // 00000000528C: 8F398107
	s_mul_i32 s57, s57, 0x200                                  // 000000005290: 9239FF39 00000200
	s_add_u32 s56, s57, s56                                    // 000000005298: 80383839
	s_and_b32 s57, s7, 1                                       // 00000000529C: 86398107
	s_mul_i32 s57, s57, 0x80                                   // 0000000052A0: 9239FF39 00000080
	s_add_u32 s56, s57, s56                                    // 0000000052A8: 80383839
	v_add_u32_e64 v58, v58, s56                                // 0000000052AC: D134003A 0000713A
	ds_write_b32 v58, v64 offset:41984                         // 0000000052B4: D81AA400 0000403A
	ds_write_b32 v58, v65 offset:44032                         // 0000000052BC: D81AAC00 0000413A
	ds_write_b32 v58, v66 offset:46080                         // 0000000052C4: D81AB400 0000423A
	ds_write_b32 v58, v67 offset:48128                         // 0000000052CC: D81ABC00 0000433A
	ds_write_b32 v58, v68 offset:43008                         // 0000000052D4: D81AA800 0000443A
	ds_write_b32 v58, v69 offset:45056                         // 0000000052DC: D81AB000 0000453A
	ds_write_b32 v58, v70 offset:47104                         // 0000000052E4: D81AB800 0000463A
	ds_write_b32 v58, v71 offset:49152                         // 0000000052EC: D81AC000 0000473A
	s_waitcnt lgkmcnt(0)                                       // 0000000052F4: BF8CC07F
	s_barrier                                                  // 0000000052F8: BF8A0000
	v_and_b32_e32 v58, 31, v0                                  // 0000000052FC: 2674009F
	v_lshrrev_b32_e32 v58, 4, v58                              // 000000005300: 20747484
	v_lshlrev_b32_e32 v59, 5, v58                              // 000000005304: 24767485
	v_lshrrev_b32_e32 v58, 5, v0                               // 000000005308: 20740085
	v_lshlrev_b32_e32 v58, 7, v58                              // 00000000530C: 24747487
	v_add_u32_e32 v59, v58, v59                                // 000000005310: 6876773A
	v_and_b32_e32 v58, 15, v0                                  // 000000005314: 2674008F
	v_lshlrev_b32_e32 v58, 1, v58                              // 000000005318: 24747481
	v_add_u32_e32 v59, v58, v59                                // 00000000531C: 6876773A
	v_lshlrev_b32_e32 v58, 2, v59                              // 000000005320: 24747682
	ds_read_b64 a[64:65], v58 offset:41984                     // 000000005324: DAECA400 4000003A
	ds_read_b64 a[66:67], v58 offset:42240                     // 00000000532C: DAECA500 4200003A
	ds_read_b64 a[68:69], v58 offset:43008                     // 000000005334: DAECA800 4400003A
	ds_read_b64 a[70:71], v58 offset:43264                     // 00000000533C: DAECA900 4600003A
	ds_read_b64 a[72:73], v58 offset:44032                     // 000000005344: DAECAC00 4800003A
	ds_read_b64 a[74:75], v58 offset:44288                     // 00000000534C: DAECAD00 4A00003A
	ds_read_b64 a[76:77], v58 offset:45056                     // 000000005354: DAECB000 4C00003A
	ds_read_b64 a[78:79], v58 offset:45312                     // 00000000535C: DAECB100 4E00003A
	ds_read_b64 a[80:81], v58 offset:46080                     // 000000005364: DAECB400 5000003A
	ds_read_b64 a[82:83], v58 offset:46336                     // 00000000536C: DAECB500 5200003A
	ds_read_b64 a[84:85], v58 offset:47104                     // 000000005374: DAECB800 5400003A
	ds_read_b64 a[86:87], v58 offset:47360                     // 00000000537C: DAECB900 5600003A
	ds_read_b64 a[88:89], v58 offset:48128                     // 000000005384: DAECBC00 5800003A
	ds_read_b64 a[90:91], v58 offset:48384                     // 00000000538C: DAECBD00 5A00003A
	ds_read_b64 a[92:93], v58 offset:49152                     // 000000005394: DAECC000 5C00003A
	ds_read_b64 a[94:95], v58 offset:49408                     // 00000000539C: DAECC100 5E00003A
	v_lshlrev_b32_e32 v58, 2, v0                               // 0000000053A4: 24740082
	s_mul_i32 s56, s78, s67                                    // 0000000053A8: 9238434E
	v_add_u32_e64 v96, v58, s56                                // 0000000053AC: D1340060 0000713A
	v_mov_b32_e32 v97, 0                                       // 0000000053B4: 7EC20280
	s_mul_i32 s56, s79, s67                                    // 0000000053B8: 9238434F
	v_add_u32_e64 v98, v58, s56                                // 0000000053BC: D1340062 0000713A
	v_mov_b32_e32 v99, 0                                       // 0000000053C4: 7EC60280
	s_mul_i32 s56, s80, s67                                    // 0000000053C8: 92384350
	v_add_u32_e64 v100, v58, s56                               // 0000000053CC: D1340064 0000713A
	v_mov_b32_e32 v101, 0                                      // 0000000053D4: 7ECA0280
	s_mul_i32 s56, s81, s67                                    // 0000000053D8: 92384351
	v_add_u32_e64 v102, v58, s56                               // 0000000053DC: D1340066 0000713A
	v_mov_b32_e32 v103, 0                                      // 0000000053E4: 7ECE0280
	s_mul_i32 s56, s82, s67                                    // 0000000053E8: 92384352
	v_add_u32_e64 v104, v58, s56                               // 0000000053EC: D1340068 0000713A
	v_mov_b32_e32 v105, 0                                      // 0000000053F4: 7ED20280
	s_mul_i32 s56, s83, s67                                    // 0000000053F8: 92384353
	v_add_u32_e64 v106, v58, s56                               // 0000000053FC: D134006A 0000713A
	v_mov_b32_e32 v107, 0                                      // 000000005404: 7ED60280
	s_mul_i32 s56, s84, s67                                    // 000000005408: 92384354
	v_add_u32_e64 v108, v58, s56                               // 00000000540C: D134006C 0000713A
	v_mov_b32_e32 v109, 0                                      // 000000005414: 7EDA0280
	s_mul_i32 s56, s85, s67                                    // 000000005418: 92384355
	v_add_u32_e64 v110, v58, s56                               // 00000000541C: D134006E 0000713A
	v_mov_b32_e32 v111, 0                                      // 000000005424: 7EDE0280
	s_mul_i32 s56, s86, s67                                    // 000000005428: 92384356
	v_add_u32_e64 v112, v58, s56                               // 00000000542C: D1340070 0000713A
	v_mov_b32_e32 v113, 0                                      // 000000005434: 7EE20280
	s_mul_i32 s56, s87, s67                                    // 000000005438: 92384357
	v_add_u32_e64 v114, v58, s56                               // 00000000543C: D1340072 0000713A
	v_mov_b32_e32 v115, 0                                      // 000000005444: 7EE60280
	s_mul_i32 s56, s88, s67                                    // 000000005448: 92384358
	v_add_u32_e64 v116, v58, s56                               // 00000000544C: D1340074 0000713A
	v_mov_b32_e32 v117, 0                                      // 000000005454: 7EEA0280
	s_mul_i32 s56, s89, s67                                    // 000000005458: 92384359
	v_add_u32_e64 v118, v58, s56                               // 00000000545C: D1340076 0000713A
	v_mov_b32_e32 v119, 0                                      // 000000005464: 7EEE0280
	s_mul_i32 s56, s90, s67                                    // 000000005468: 9238435A
	v_add_u32_e64 v120, v58, s56                               // 00000000546C: D1340078 0000713A
	v_mov_b32_e32 v121, 0                                      // 000000005474: 7EF20280
	s_mul_i32 s56, s91, s67                                    // 000000005478: 9238435B
	v_add_u32_e64 v122, v58, s56                               // 00000000547C: D134007A 0000713A
	v_mov_b32_e32 v123, 0                                      // 000000005484: 7EF60280
	s_mul_i32 s56, s92, s67                                    // 000000005488: 9238435C
	v_add_u32_e64 v124, v58, s56                               // 00000000548C: D134007C 0000713A
	v_mov_b32_e32 v125, 0                                      // 000000005494: 7EFA0280
	s_mul_i32 s56, s93, s67                                    // 000000005498: 9238435D
	v_add_u32_e64 v126, v58, s56                               // 00000000549C: D134007E 0000713A
	v_mov_b32_e32 v127, 0                                      // 0000000054A4: 7EFE0280
	s_add_u32 s12, s52, s12                                    // 0000000054A8: 800C0C34
	s_addc_u32 s13, 0, s13                                     // 0000000054AC: 820D0D80
	s_add_u32 s16, s75, s16                                    // 0000000054B0: 8010104B
	s_addc_u32 s17, 0, s17                                     // 0000000054B4: 82111180
	s_mov_b32 s76, 0                                           // 0000000054B8: BECC0080
	s_waitcnt vmcnt(0) expcnt(0) lgkmcnt(0)                    // 0000000054BC: BF8C0000

00000000000054c0 <label_09B0>:
	s_waitcnt vmcnt(4)                                         // 0000000054C0: BF8C0F74
	s_barrier                                                  // 0000000054C4: BF8A0000
	v_mfma_f32_16x16x128_f8f6f4 v[128:131], a[0:7], a[64:71], 0// 0000000054C8: D3AD0080 1A028100
	v_mfma_f32_16x16x128_f8f6f4 v[132:135], a[0:7], a[72:79], 0// 0000000054D0: D3AD0084 1A029100
	buffer_load_dwordx4 a[32:35], v49, s[12:15], 0 offen       // 0000000054D8: E05C1000 80832031
	buffer_load_dwordx4 a[36:39], v49, s[12:15], 0 offen offset:1024// 0000000054E0: E05C1400 80832431
	v_mfma_f32_16x16x128_f8f6f4 v[136:139], a[0:7], a[80:87], 0// 0000000054E8: D3AD0088 1A02A100
	v_mfma_f32_16x16x128_f8f6f4 v[140:143], a[0:7], a[88:95], 0// 0000000054F0: D3AD008C 1A02B100
	buffer_load_dwordx4 a[40:43], v50, s[12:15], 0 offen       // 0000000054F8: E05C1000 80832832
	buffer_load_dwordx4 a[44:47], v50, s[12:15], 0 offen offset:1024// 000000005500: E05C1400 80832C32
	buffer_load_dword v38, v8, s[16:19], 0 offen               // 000000005508: E0501000 80042608
	s_waitcnt vmcnt(5)                                         // 000000005510: BF8C0F75
	v_mfma_f32_16x16x128_f8f6f4 v[144:147], a[8:15], a[64:71], 0// 000000005514: D3AD0090 1A028108
	v_mfma_f32_16x16x128_f8f6f4 v[148:151], a[8:15], a[72:79], 0// 00000000551C: D3AD0094 1A029108
	buffer_load_dwordx4 a[48:51], v51, s[12:15], 0 offen       // 000000005524: E05C1000 80833033
	buffer_load_dwordx4 a[52:55], v51, s[12:15], 0 offen offset:1024// 00000000552C: E05C1400 80833433
	v_mfma_f32_16x16x128_f8f6f4 v[152:155], a[8:15], a[80:87], 0// 000000005534: D3AD0098 1A02A108
	v_mfma_f32_16x16x128_f8f6f4 v[156:159], a[8:15], a[88:95], 0// 00000000553C: D3AD009C 1A02B108
	buffer_load_dwordx4 a[56:59], v52, s[12:15], 0 offen       // 000000005544: E05C1000 80833834
	buffer_load_dwordx4 a[60:63], v52, s[12:15], 0 offen offset:1024// 00000000554C: E05C1400 80833C34
	s_waitcnt vmcnt(5)                                         // 000000005554: BF8C0F75
	v_mfma_f32_16x16x128_f8f6f4 v[160:163], a[16:23], a[64:71], 0// 000000005558: D3AD00A0 1A028110
	v_mfma_f32_16x16x128_f8f6f4 v[164:167], a[16:23], a[72:79], 0// 000000005560: D3AD00A4 1A029110
	v_mfma_f32_16x16x128_f8f6f4 v[168:171], a[16:23], a[80:87], 0// 000000005568: D3AD00A8 1A02A110
	v_mfma_f32_16x16x128_f8f6f4 v[172:175], a[16:23], a[88:95], 0// 000000005570: D3AD00AC 1A02B110
	s_waitcnt vmcnt(5)                                         // 000000005578: BF8C0F75
	v_mfma_f32_16x16x128_f8f6f4 v[176:179], a[24:31], a[64:71], 0// 00000000557C: D3AD00B0 1A028118
	v_mfma_f32_16x16x128_f8f6f4 v[180:183], a[24:31], a[72:79], 0// 000000005584: D3AD00B4 1A029118
	v_mfma_f32_16x16x128_f8f6f4 v[184:187], a[24:31], a[80:87], 0// 00000000558C: D3AD00B8 1A02A118
	v_mfma_f32_16x16x128_f8f6f4 v[188:191], a[24:31], a[88:95], 0// 000000005594: D3AD00BC 1A02B118
	v_mul_f32_dpp v58, v37, v21 row_newbcast:0 row_mask:0xf bank_mask:0xf// 00000000559C: 0A742AFA FF015025
	v_mov_b32_e32 v59, v58                                     // 0000000055A4: 7E76033A
	v_pk_mul_f32 v[128:129], v[58:59], v[128:129]              // 0000000055A8: D3B14080 1803013A
	v_pk_mul_f32 v[130:131], v[58:59], v[130:131]              // 0000000055B0: D3B14082 1803053A
	v_pk_mul_f32 v[144:145], v[58:59], v[144:145]              // 0000000055B8: D3B14090 1803213A
	v_pk_mul_f32 v[146:147], v[58:59], v[146:147]              // 0000000055C0: D3B14092 1803253A
	v_mul_f32_dpp v58, v37, v21 row_newbcast:1 row_mask:0xf bank_mask:0xf// 0000000055C8: 0A742AFA FF015125
	v_mov_b32_e32 v59, v58                                     // 0000000055D0: 7E76033A
	v_pk_mul_f32 v[160:161], v[58:59], v[160:161]              // 0000000055D4: D3B140A0 1803413A
	v_pk_mul_f32 v[162:163], v[58:59], v[162:163]              // 0000000055DC: D3B140A2 1803453A
	v_pk_mul_f32 v[176:177], v[58:59], v[176:177]              // 0000000055E4: D3B140B0 1803613A
	v_pk_mul_f32 v[178:179], v[58:59], v[178:179]              // 0000000055EC: D3B140B2 1803653A
	v_mul_f32_dpp v58, v37, v22 row_newbcast:0 row_mask:0xf bank_mask:0xf// 0000000055F4: 0A742CFA FF015025
	v_mov_b32_e32 v59, v58                                     // 0000000055FC: 7E76033A
	v_pk_mul_f32 v[132:133], v[58:59], v[132:133]              // 000000005600: D3B14084 1803093A
	v_pk_mul_f32 v[134:135], v[58:59], v[134:135]              // 000000005608: D3B14086 18030D3A
	v_pk_mul_f32 v[148:149], v[58:59], v[148:149]              // 000000005610: D3B14094 1803293A
	v_pk_mul_f32 v[150:151], v[58:59], v[150:151]              // 000000005618: D3B14096 18032D3A
	v_mul_f32_dpp v58, v37, v22 row_newbcast:1 row_mask:0xf bank_mask:0xf// 000000005620: 0A742CFA FF015125
	v_mov_b32_e32 v59, v58                                     // 000000005628: 7E76033A
	v_pk_mul_f32 v[164:165], v[58:59], v[164:165]              // 00000000562C: D3B140A4 1803493A
	v_pk_mul_f32 v[166:167], v[58:59], v[166:167]              // 000000005634: D3B140A6 18034D3A
	v_pk_mul_f32 v[180:181], v[58:59], v[180:181]              // 00000000563C: D3B140B4 1803693A
	v_pk_mul_f32 v[182:183], v[58:59], v[182:183]              // 000000005644: D3B140B6 18036D3A
	v_mul_f32_dpp v58, v37, v23 row_newbcast:0 row_mask:0xf bank_mask:0xf// 00000000564C: 0A742EFA FF015025
	v_mov_b32_e32 v59, v58                                     // 000000005654: 7E76033A
	v_pk_mul_f32 v[136:137], v[58:59], v[136:137]              // 000000005658: D3B14088 1803113A
	v_pk_mul_f32 v[138:139], v[58:59], v[138:139]              // 000000005660: D3B1408A 1803153A
	v_pk_mul_f32 v[152:153], v[58:59], v[152:153]              // 000000005668: D3B14098 1803313A
	v_pk_mul_f32 v[154:155], v[58:59], v[154:155]              // 000000005670: D3B1409A 1803353A
	v_mul_f32_dpp v58, v37, v23 row_newbcast:1 row_mask:0xf bank_mask:0xf// 000000005678: 0A742EFA FF015125
	v_mov_b32_e32 v59, v58                                     // 000000005680: 7E76033A
	v_pk_mul_f32 v[168:169], v[58:59], v[168:169]              // 000000005684: D3B140A8 1803513A
	v_pk_mul_f32 v[170:171], v[58:59], v[170:171]              // 00000000568C: D3B140AA 1803553A
	v_pk_mul_f32 v[184:185], v[58:59], v[184:185]              // 000000005694: D3B140B8 1803713A
	v_pk_mul_f32 v[186:187], v[58:59], v[186:187]              // 00000000569C: D3B140BA 1803753A
	v_mul_f32_dpp v58, v37, v24 row_newbcast:0 row_mask:0xf bank_mask:0xf// 0000000056A4: 0A7430FA FF015025
	v_mov_b32_e32 v59, v58                                     // 0000000056AC: 7E76033A
	v_pk_mul_f32 v[140:141], v[58:59], v[140:141]              // 0000000056B0: D3B1408C 1803193A
	v_pk_mul_f32 v[142:143], v[58:59], v[142:143]              // 0000000056B8: D3B1408E 18031D3A
	v_pk_mul_f32 v[156:157], v[58:59], v[156:157]              // 0000000056C0: D3B1409C 1803393A
	v_pk_mul_f32 v[158:159], v[58:59], v[158:159]              // 0000000056C8: D3B1409E 18033D3A
	v_mul_f32_dpp v58, v37, v24 row_newbcast:1 row_mask:0xf bank_mask:0xf// 0000000056D0: 0A7430FA FF015125
	v_mov_b32_e32 v59, v58                                     // 0000000056D8: 7E76033A
	v_pk_mul_f32 v[172:173], v[58:59], v[172:173]              // 0000000056DC: D3B140AC 1803593A
	v_pk_mul_f32 v[174:175], v[58:59], v[174:175]              // 0000000056E4: D3B140AE 18035D3A
	v_pk_mul_f32 v[188:189], v[58:59], v[188:189]              // 0000000056EC: D3B140BC 1803793A
	v_pk_mul_f32 v[190:191], v[58:59], v[190:191]              // 0000000056F4: D3B140BE 18037D3A
	s_add_u32 s56, 0x200, s76                                  // 0000000056FC: 80384CFF 00000200
	s_cmp_lt_u32 s56, s77                                      // 000000005704: BF0A4D38
	s_cselect_b32 s52, s52, 0                                  // 000000005708: 85348034
	s_cselect_b32 s74, s74, 0                                  // 00000000570C: 854A804A
	s_cselect_b32 s75, s75, 0                                  // 000000005710: 854B804B
	s_add_u32 s12, s52, s12                                    // 000000005714: 800C0C34
	s_addc_u32 s13, 0, s13                                     // 000000005718: 820D0D80
	s_add_u32 s16, s75, s16                                    // 00000000571C: 8010104B
	s_addc_u32 s17, 0, s17                                     // 000000005720: 82111180
	v_mov_b32_e32 v58, v39                                     // 000000005724: 7E740327
	v_mov_b32_e32 v59, v39                                     // 000000005728: 7E760327
	v_pk_mul_f32 v[128:129], v[58:59], v[128:129]              // 00000000572C: D3B14080 1803013A
	v_pk_mul_f32 v[130:131], v[58:59], v[130:131]              // 000000005734: D3B14082 1803053A
	v_pk_mul_f32 v[144:145], v[58:59], v[144:145]              // 00000000573C: D3B14090 1803213A
	v_pk_mul_f32 v[146:147], v[58:59], v[146:147]              // 000000005744: D3B14092 1803253A
	v_pk_mul_f32 v[160:161], v[58:59], v[160:161]              // 00000000574C: D3B140A0 1803413A
	v_pk_mul_f32 v[162:163], v[58:59], v[162:163]              // 000000005754: D3B140A2 1803453A
	v_pk_mul_f32 v[176:177], v[58:59], v[176:177]              // 00000000575C: D3B140B0 1803613A
	v_pk_mul_f32 v[178:179], v[58:59], v[178:179]              // 000000005764: D3B140B2 1803653A
	v_mov_b32_e32 v58, v40                                     // 00000000576C: 7E740328
	v_mov_b32_e32 v59, v40                                     // 000000005770: 7E760328
	v_pk_mul_f32 v[132:133], v[58:59], v[132:133]              // 000000005774: D3B14084 1803093A
	v_pk_mul_f32 v[134:135], v[58:59], v[134:135]              // 00000000577C: D3B14086 18030D3A
	v_pk_mul_f32 v[148:149], v[58:59], v[148:149]              // 000000005784: D3B14094 1803293A
	v_pk_mul_f32 v[150:151], v[58:59], v[150:151]              // 00000000578C: D3B14096 18032D3A
	v_pk_mul_f32 v[164:165], v[58:59], v[164:165]              // 000000005794: D3B140A4 1803493A
	v_pk_mul_f32 v[166:167], v[58:59], v[166:167]              // 00000000579C: D3B140A6 18034D3A
	v_pk_mul_f32 v[180:181], v[58:59], v[180:181]              // 0000000057A4: D3B140B4 1803693A
	v_pk_mul_f32 v[182:183], v[58:59], v[182:183]              // 0000000057AC: D3B140B6 18036D3A
	v_mov_b32_e32 v58, v41                                     // 0000000057B4: 7E740329
	v_mov_b32_e32 v59, v41                                     // 0000000057B8: 7E760329
	v_pk_mul_f32 v[136:137], v[58:59], v[136:137]              // 0000000057BC: D3B14088 1803113A
	v_pk_mul_f32 v[138:139], v[58:59], v[138:139]              // 0000000057C4: D3B1408A 1803153A
	v_pk_mul_f32 v[152:153], v[58:59], v[152:153]              // 0000000057CC: D3B14098 1803313A
	v_pk_mul_f32 v[154:155], v[58:59], v[154:155]              // 0000000057D4: D3B1409A 1803353A
	v_pk_mul_f32 v[168:169], v[58:59], v[168:169]              // 0000000057DC: D3B140A8 1803513A
	v_pk_mul_f32 v[170:171], v[58:59], v[170:171]              // 0000000057E4: D3B140AA 1803553A
	v_pk_mul_f32 v[184:185], v[58:59], v[184:185]              // 0000000057EC: D3B140B8 1803713A
	v_pk_mul_f32 v[186:187], v[58:59], v[186:187]              // 0000000057F4: D3B140BA 1803753A
	v_mov_b32_e32 v58, v42                                     // 0000000057FC: 7E74032A
	v_mov_b32_e32 v59, v42                                     // 000000005800: 7E76032A
	v_pk_mul_f32 v[140:141], v[58:59], v[140:141]              // 000000005804: D3B1408C 1803193A
	v_pk_mul_f32 v[142:143], v[58:59], v[142:143]              // 00000000580C: D3B1408E 18031D3A
	v_pk_mul_f32 v[156:157], v[58:59], v[156:157]              // 000000005814: D3B1409C 1803393A
	v_pk_mul_f32 v[158:159], v[58:59], v[158:159]              // 00000000581C: D3B1409E 18033D3A
	v_pk_mul_f32 v[172:173], v[58:59], v[172:173]              // 000000005824: D3B140AC 1803593A
	v_pk_mul_f32 v[174:175], v[58:59], v[174:175]              // 00000000582C: D3B140AE 18035D3A
	v_pk_mul_f32 v[188:189], v[58:59], v[188:189]              // 000000005834: D3B140BC 1803793A
	v_pk_mul_f32 v[190:191], v[58:59], v[190:191]              // 00000000583C: D3B140BE 18037D3A
	v_cvt_pk_bf16_f32 v128, v128, v129                         // 000000005844: D2680080 00030380
	v_cvt_pk_bf16_f32 v129, v130, v131                         // 00000000584C: D2680081 00030782
	v_cvt_pk_bf16_f32 v130, v132, v133                         // 000000005854: D2680082 00030B84
	v_cvt_pk_bf16_f32 v131, v134, v135                         // 00000000585C: D2680083 00030F86
	v_cvt_pk_bf16_f32 v132, v136, v137                         // 000000005864: D2680084 00031388
	v_cvt_pk_bf16_f32 v133, v138, v139                         // 00000000586C: D2680085 0003178A
	v_cvt_pk_bf16_f32 v134, v140, v141                         // 000000005874: D2680086 00031B8C
	v_cvt_pk_bf16_f32 v135, v142, v143                         // 00000000587C: D2680087 00031F8E
	v_cvt_pk_bf16_f32 v136, v144, v145                         // 000000005884: D2680088 00032390
	v_cvt_pk_bf16_f32 v137, v146, v147                         // 00000000588C: D2680089 00032792
	v_cvt_pk_bf16_f32 v138, v148, v149                         // 000000005894: D268008A 00032B94
	v_cvt_pk_bf16_f32 v139, v150, v151                         // 00000000589C: D268008B 00032F96
	v_cvt_pk_bf16_f32 v140, v152, v153                         // 0000000058A4: D268008C 00033398
	v_cvt_pk_bf16_f32 v141, v154, v155                         // 0000000058AC: D268008D 0003379A
	v_cvt_pk_bf16_f32 v142, v156, v157                         // 0000000058B4: D268008E 00033B9C
	v_cvt_pk_bf16_f32 v143, v158, v159                         // 0000000058BC: D268008F 00033F9E
	v_cvt_pk_bf16_f32 v144, v160, v161                         // 0000000058C4: D2680090 000343A0
	v_cvt_pk_bf16_f32 v145, v162, v163                         // 0000000058CC: D2680091 000347A2
	v_cvt_pk_bf16_f32 v146, v164, v165                         // 0000000058D4: D2680092 00034BA4
	v_cvt_pk_bf16_f32 v147, v166, v167                         // 0000000058DC: D2680093 00034FA6
	v_cvt_pk_bf16_f32 v148, v168, v169                         // 0000000058E4: D2680094 000353A8
	v_cvt_pk_bf16_f32 v149, v170, v171                         // 0000000058EC: D2680095 000357AA
	v_cvt_pk_bf16_f32 v150, v172, v173                         // 0000000058F4: D2680096 00035BAC
	v_cvt_pk_bf16_f32 v151, v174, v175                         // 0000000058FC: D2680097 00035FAE
	v_cvt_pk_bf16_f32 v152, v176, v177                         // 000000005904: D2680098 000363B0
	v_cvt_pk_bf16_f32 v153, v178, v179                         // 00000000590C: D2680099 000367B2
	v_cvt_pk_bf16_f32 v154, v180, v181                         // 000000005914: D268009A 00036BB4
	v_cvt_pk_bf16_f32 v155, v182, v183                         // 00000000591C: D268009B 00036FB6
	v_cvt_pk_bf16_f32 v156, v184, v185                         // 000000005924: D268009C 000373B8
	v_cvt_pk_bf16_f32 v157, v186, v187                         // 00000000592C: D268009D 000377BA
	v_cvt_pk_bf16_f32 v158, v188, v189                         // 000000005934: D268009E 00037BBC
	v_cvt_pk_bf16_f32 v159, v190, v191                         // 00000000593C: D268009F 00037FBE
	ds_write_b64 v4, v[128:129]                                // 000000005944: D89A0000 00008004
	ds_write_b64 v4, v[130:131] offset:8704                    // 00000000594C: D89A2200 00008204
	ds_write_b64 v5, v[132:133]                                // 000000005954: D89A0000 00008405
	ds_write_b64 v5, v[134:135] offset:8704                    // 00000000595C: D89A2200 00008605
	ds_write_b64 v4, v[136:137] offset:2176                    // 000000005964: D89A0880 00008804
	ds_write_b64 v4, v[138:139] offset:10880                   // 00000000596C: D89A2A80 00008A04
	ds_write_b64 v5, v[140:141] offset:2176                    // 000000005974: D89A0880 00008C05
	ds_write_b64 v5, v[142:143] offset:10880                   // 00000000597C: D89A2A80 00008E05
	ds_write_b64 v4, v[144:145] offset:4352                    // 000000005984: D89A1100 00009004
	ds_write_b64 v4, v[146:147] offset:13056                   // 00000000598C: D89A3300 00009204
	ds_write_b64 v5, v[148:149] offset:4352                    // 000000005994: D89A1100 00009405
	ds_write_b64 v5, v[150:151] offset:13056                   // 00000000599C: D89A3300 00009605
	ds_write_b64 v4, v[152:153] offset:6528                    // 0000000059A4: D89A1980 00009804
	ds_write_b64 v4, v[154:155] offset:15232                   // 0000000059AC: D89A3B80 00009A04
	ds_write_b64 v5, v[156:157] offset:6528                    // 0000000059B4: D89A1980 00009C05
	ds_write_b64 v5, v[158:159] offset:15232                   // 0000000059BC: D89A3B80 00009E05
	s_waitcnt lgkmcnt(0)                                       // 0000000059C4: BF8CC07F
	s_barrier                                                  // 0000000059C8: BF8A0000
	ds_read_b32 v64, v6                                        // 0000000059CC: D86C0000 40000006
	ds_read_b32 v65, v6 offset:4352                            // 0000000059D4: D86C1100 41000006
	ds_read_b32 v66, v6 offset:8                               // 0000000059DC: D86C0008 42000006
	ds_read_b32 v67, v6 offset:4360                            // 0000000059E4: D86C1108 43000006
	ds_read_b32 v68, v6 offset:32                              // 0000000059EC: D86C0020 44000006
	ds_read_b32 v69, v6 offset:4384                            // 0000000059F4: D86C1120 45000006
	ds_read_b32 v70, v6 offset:40                              // 0000000059FC: D86C0028 46000006
	ds_read_b32 v71, v6 offset:4392                            // 000000005A04: D86C1128 47000006
	ds_read_b32 v72, v6 offset:8704                            // 000000005A0C: D86C2200 48000006
	ds_read_b32 v73, v6 offset:13056                           // 000000005A14: D86C3300 49000006
	ds_read_b32 v74, v6 offset:8712                            // 000000005A1C: D86C2208 4A000006
	ds_read_b32 v75, v6 offset:13064                           // 000000005A24: D86C3308 4B000006
	ds_read_b32 v76, v6 offset:8736                            // 000000005A2C: D86C2220 4C000006
	ds_read_b32 v77, v6 offset:13088                           // 000000005A34: D86C3320 4D000006
	ds_read_b32 v78, v6 offset:8744                            // 000000005A3C: D86C2228 4E000006
	ds_read_b32 v79, v6 offset:13096                           // 000000005A44: D86C3328 4F000006
	ds_read_b32 v80, v7                                        // 000000005A4C: D86C0000 50000007
	ds_read_b32 v81, v7 offset:4352                            // 000000005A54: D86C1100 51000007
	ds_read_b32 v82, v7 offset:8                               // 000000005A5C: D86C0008 52000007
	ds_read_b32 v83, v7 offset:4360                            // 000000005A64: D86C1108 53000007
	ds_read_b32 v84, v7 offset:32                              // 000000005A6C: D86C0020 54000007
	ds_read_b32 v85, v7 offset:4384                            // 000000005A74: D86C1120 55000007
	ds_read_b32 v86, v7 offset:40                              // 000000005A7C: D86C0028 56000007
	ds_read_b32 v87, v7 offset:4392                            // 000000005A84: D86C1128 57000007
	ds_read_b32 v88, v7 offset:8704                            // 000000005A8C: D86C2200 58000007
	ds_read_b32 v89, v7 offset:13056                           // 000000005A94: D86C3300 59000007
	ds_read_b32 v90, v7 offset:8712                            // 000000005A9C: D86C2208 5A000007
	ds_read_b32 v91, v7 offset:13064                           // 000000005AA4: D86C3308 5B000007
	ds_read_b32 v92, v7 offset:8736                            // 000000005AAC: D86C2220 5C000007
	ds_read_b32 v93, v7 offset:13088                           // 000000005AB4: D86C3320 5D000007
	ds_read_b32 v94, v7 offset:8744                            // 000000005ABC: D86C2228 5E000007
	ds_read_b32 v95, v7 offset:13096                           // 000000005AC4: D86C3328 5F000007
	s_waitcnt lgkmcnt(0)                                       // 000000005ACC: BF8CC07F
	s_setvskip s20, 0                                          // 000000005AD0: BF108014
	global_atomic_pk_add_bf16 v96, v64, s[8:9]                 // 000000005AD4: DD488000 00084060
	s_setvskip 0, 0                                            // 000000005ADC: BF108080
	s_setvskip s20, 0                                          // 000000005AE0: BF108014
	global_atomic_pk_add_bf16 v96, v65, s[8:9] offset:256      // 000000005AE4: DD488100 00084160
	s_setvskip 0, 0                                            // 000000005AEC: BF108080
	s_setvskip s20, 1                                          // 000000005AF0: BF108114
	global_atomic_pk_add_bf16 v98, v66, s[8:9]                 // 000000005AF4: DD488000 00084262
	s_setvskip 0, 0                                            // 000000005AFC: BF108080
	s_setvskip s20, 1                                          // 000000005B00: BF108114
	global_atomic_pk_add_bf16 v98, v67, s[8:9] offset:256      // 000000005B04: DD488100 00084362
	s_setvskip 0, 0                                            // 000000005B0C: BF108080
	s_setvskip s20, 2                                          // 000000005B10: BF108214
	global_atomic_pk_add_bf16 v100, v68, s[8:9]                // 000000005B14: DD488000 00084464
	s_setvskip 0, 0                                            // 000000005B1C: BF108080
	s_setvskip s20, 2                                          // 000000005B20: BF108214
	global_atomic_pk_add_bf16 v100, v69, s[8:9] offset:256     // 000000005B24: DD488100 00084564
	s_setvskip 0, 0                                            // 000000005B2C: BF108080
	s_setvskip s20, 3                                          // 000000005B30: BF108314
	global_atomic_pk_add_bf16 v102, v70, s[8:9]                // 000000005B34: DD488000 00084666
	s_setvskip 0, 0                                            // 000000005B3C: BF108080
	s_setvskip s20, 3                                          // 000000005B40: BF108314
	global_atomic_pk_add_bf16 v102, v71, s[8:9] offset:256     // 000000005B44: DD488100 00084766
	s_setvskip 0, 0                                            // 000000005B4C: BF108080
	s_setvskip s20, 4                                          // 000000005B50: BF108414
	global_atomic_pk_add_bf16 v104, v72, s[8:9]                // 000000005B54: DD488000 00084868
	s_setvskip 0, 0                                            // 000000005B5C: BF108080
	s_setvskip s20, 4                                          // 000000005B60: BF108414
	global_atomic_pk_add_bf16 v104, v73, s[8:9] offset:256     // 000000005B64: DD488100 00084968
	s_setvskip 0, 0                                            // 000000005B6C: BF108080
	s_setvskip s20, 5                                          // 000000005B70: BF108514
	global_atomic_pk_add_bf16 v106, v74, s[8:9]                // 000000005B74: DD488000 00084A6A
	s_setvskip 0, 0                                            // 000000005B7C: BF108080
	s_setvskip s20, 5                                          // 000000005B80: BF108514
	global_atomic_pk_add_bf16 v106, v75, s[8:9] offset:256     // 000000005B84: DD488100 00084B6A
	s_setvskip 0, 0                                            // 000000005B8C: BF108080
	s_setvskip s20, 6                                          // 000000005B90: BF108614
	global_atomic_pk_add_bf16 v108, v76, s[8:9]                // 000000005B94: DD488000 00084C6C
	s_setvskip 0, 0                                            // 000000005B9C: BF108080
	s_setvskip s20, 6                                          // 000000005BA0: BF108614
	global_atomic_pk_add_bf16 v108, v77, s[8:9] offset:256     // 000000005BA4: DD488100 00084D6C
	s_setvskip 0, 0                                            // 000000005BAC: BF108080
	s_setvskip s20, 7                                          // 000000005BB0: BF108714
	global_atomic_pk_add_bf16 v110, v78, s[8:9]                // 000000005BB4: DD488000 00084E6E
	s_setvskip 0, 0                                            // 000000005BBC: BF108080
	s_setvskip s20, 7                                          // 000000005BC0: BF108714
	global_atomic_pk_add_bf16 v110, v79, s[8:9] offset:256     // 000000005BC4: DD488100 00084F6E
	s_setvskip 0, 0                                            // 000000005BCC: BF108080
	s_setvskip s20, 8                                          // 000000005BD0: BF108814
	global_atomic_pk_add_bf16 v112, v80, s[8:9]                // 000000005BD4: DD488000 00085070
	s_setvskip 0, 0                                            // 000000005BDC: BF108080
	s_setvskip s20, 8                                          // 000000005BE0: BF108814
	global_atomic_pk_add_bf16 v112, v81, s[8:9] offset:256     // 000000005BE4: DD488100 00085170
	s_setvskip 0, 0                                            // 000000005BEC: BF108080
	s_setvskip s20, 9                                          // 000000005BF0: BF108914
	global_atomic_pk_add_bf16 v114, v82, s[8:9]                // 000000005BF4: DD488000 00085272
	s_setvskip 0, 0                                            // 000000005BFC: BF108080
	s_setvskip s20, 9                                          // 000000005C00: BF108914
	global_atomic_pk_add_bf16 v114, v83, s[8:9] offset:256     // 000000005C04: DD488100 00085372
	s_setvskip 0, 0                                            // 000000005C0C: BF108080
	s_setvskip s20, 10                                         // 000000005C10: BF108A14
	global_atomic_pk_add_bf16 v116, v84, s[8:9]                // 000000005C14: DD488000 00085474
	s_setvskip 0, 0                                            // 000000005C1C: BF108080
	s_setvskip s20, 10                                         // 000000005C20: BF108A14
	global_atomic_pk_add_bf16 v116, v85, s[8:9] offset:256     // 000000005C24: DD488100 00085574
	s_setvskip 0, 0                                            // 000000005C2C: BF108080
	s_setvskip s20, 11                                         // 000000005C30: BF108B14
	global_atomic_pk_add_bf16 v118, v86, s[8:9]                // 000000005C34: DD488000 00085676
	s_setvskip 0, 0                                            // 000000005C3C: BF108080
	s_setvskip s20, 11                                         // 000000005C40: BF108B14
	global_atomic_pk_add_bf16 v118, v87, s[8:9] offset:256     // 000000005C44: DD488100 00085776
	s_setvskip 0, 0                                            // 000000005C4C: BF108080
	s_setvskip s20, 12                                         // 000000005C50: BF108C14
	global_atomic_pk_add_bf16 v120, v88, s[8:9]                // 000000005C54: DD488000 00085878
	s_setvskip 0, 0                                            // 000000005C5C: BF108080
	s_setvskip s20, 12                                         // 000000005C60: BF108C14
	global_atomic_pk_add_bf16 v120, v89, s[8:9] offset:256     // 000000005C64: DD488100 00085978
	s_setvskip 0, 0                                            // 000000005C6C: BF108080
	s_setvskip s20, 13                                         // 000000005C70: BF108D14
	global_atomic_pk_add_bf16 v122, v90, s[8:9]                // 000000005C74: DD488000 00085A7A
	s_setvskip 0, 0                                            // 000000005C7C: BF108080
	s_setvskip s20, 13                                         // 000000005C80: BF108D14
	global_atomic_pk_add_bf16 v122, v91, s[8:9] offset:256     // 000000005C84: DD488100 00085B7A
	s_setvskip 0, 0                                            // 000000005C8C: BF108080
	s_setvskip s20, 14                                         // 000000005C90: BF108E14
	global_atomic_pk_add_bf16 v124, v92, s[8:9]                // 000000005C94: DD488000 00085C7C
	s_setvskip 0, 0                                            // 000000005C9C: BF108080
	s_setvskip s20, 14                                         // 000000005CA0: BF108E14
	global_atomic_pk_add_bf16 v124, v93, s[8:9] offset:256     // 000000005CA4: DD488100 00085D7C
	s_setvskip 0, 0                                            // 000000005CAC: BF108080
	s_setvskip s20, 15                                         // 000000005CB0: BF108F14
	global_atomic_pk_add_bf16 v126, v94, s[8:9]                // 000000005CB4: DD488000 00085E7E
	s_setvskip 0, 0                                            // 000000005CBC: BF108080
	s_setvskip s20, 15                                         // 000000005CC0: BF108F14
	global_atomic_pk_add_bf16 v126, v95, s[8:9] offset:256     // 000000005CC4: DD488100 00085F7E
	s_setvskip 0, 0                                            // 000000005CCC: BF108080
	s_add_u32 s8, s55, s8                                      // 000000005CD0: 80080837
	s_addc_u32 s9, 0, s9                                       // 000000005CD4: 82090980
	s_addk_i32 s76, 0x100                                      // 000000005CD8: B74C0100
	s_cmp_lt_i32 s76, s77                                      // 000000005CDC: BF044D4C
	s_cbranch_scc0 label_0DC3                                  // 000000005CE0: BF84020A
	s_waitcnt vmcnt(4)                                         // 000000005CE4: BF8C0F74
	s_barrier                                                  // 000000005CE8: BF8A0000
	v_mfma_f32_16x16x128_f8f6f4 v[192:195], a[32:39], a[64:71], 0// 000000005CEC: D3AD00C0 1A028120
	v_mfma_f32_16x16x128_f8f6f4 v[196:199], a[32:39], a[72:79], 0// 000000005CF4: D3AD00C4 1A029120
	buffer_load_dwordx4 a[0:3], v49, s[12:15], 0 offen         // 000000005CFC: E05C1000 80830031
	buffer_load_dwordx4 a[4:7], v49, s[12:15], 0 offen offset:1024// 000000005D04: E05C1400 80830431
	v_mfma_f32_16x16x128_f8f6f4 v[200:203], a[32:39], a[80:87], 0// 000000005D0C: D3AD00C8 1A02A120
	v_mfma_f32_16x16x128_f8f6f4 v[204:207], a[32:39], a[88:95], 0// 000000005D14: D3AD00CC 1A02B120
	buffer_load_dwordx4 a[8:11], v50, s[12:15], 0 offen        // 000000005D1C: E05C1000 80830832
	buffer_load_dwordx4 a[12:15], v50, s[12:15], 0 offen offset:1024// 000000005D24: E05C1400 80830C32
	buffer_load_dword v37, v8, s[16:19], 0 offen               // 000000005D2C: E0501000 80042508
	s_waitcnt vmcnt(5)                                         // 000000005D34: BF8C0F75
	v_mfma_f32_16x16x128_f8f6f4 v[208:211], a[40:47], a[64:71], 0// 000000005D38: D3AD00D0 1A028128
	v_mfma_f32_16x16x128_f8f6f4 v[212:215], a[40:47], a[72:79], 0// 000000005D40: D3AD00D4 1A029128
	buffer_load_dwordx4 a[16:19], v51, s[12:15], 0 offen       // 000000005D48: E05C1000 80831033
	buffer_load_dwordx4 a[20:23], v51, s[12:15], 0 offen offset:1024// 000000005D50: E05C1400 80831433
	v_mfma_f32_16x16x128_f8f6f4 v[216:219], a[40:47], a[80:87], 0// 000000005D58: D3AD00D8 1A02A128
	v_mfma_f32_16x16x128_f8f6f4 v[220:223], a[40:47], a[88:95], 0// 000000005D60: D3AD00DC 1A02B128
	buffer_load_dwordx4 a[24:27], v52, s[12:15], 0 offen       // 000000005D68: E05C1000 80831834
	buffer_load_dwordx4 a[28:31], v52, s[12:15], 0 offen offset:1024// 000000005D70: E05C1400 80831C34
	s_waitcnt vmcnt(5)                                         // 000000005D78: BF8C0F75
	v_mfma_f32_16x16x128_f8f6f4 v[224:227], a[48:55], a[64:71], 0// 000000005D7C: D3AD00E0 1A028130
	v_mfma_f32_16x16x128_f8f6f4 v[228:231], a[48:55], a[72:79], 0// 000000005D84: D3AD00E4 1A029130
	v_mfma_f32_16x16x128_f8f6f4 v[232:235], a[48:55], a[80:87], 0// 000000005D8C: D3AD00E8 1A02A130
	v_mfma_f32_16x16x128_f8f6f4 v[236:239], a[48:55], a[88:95], 0// 000000005D94: D3AD00EC 1A02B130
	s_waitcnt vmcnt(5)                                         // 000000005D9C: BF8C0F75
	v_mfma_f32_16x16x128_f8f6f4 v[240:243], a[56:63], a[64:71], 0// 000000005DA0: D3AD00F0 1A028138
	v_mfma_f32_16x16x128_f8f6f4 v[244:247], a[56:63], a[72:79], 0// 000000005DA8: D3AD00F4 1A029138
	v_mfma_f32_16x16x128_f8f6f4 v[248:251], a[56:63], a[80:87], 0// 000000005DB0: D3AD00F8 1A02A138
	v_mfma_f32_16x16x128_f8f6f4 v[252:255], a[56:63], a[88:95], 0// 000000005DB8: D3AD00FC 1A02B138
	v_mul_f32_dpp v58, v38, v21 row_newbcast:0 row_mask:0xf bank_mask:0xf// 000000005DC0: 0A742AFA FF015026
	v_mov_b32_e32 v59, v58                                     // 000000005DC8: 7E76033A
	v_pk_mul_f32 v[192:193], v[58:59], v[192:193]              // 000000005DCC: D3B140C0 1803813A
	v_pk_mul_f32 v[194:195], v[58:59], v[194:195]              // 000000005DD4: D3B140C2 1803853A
	v_pk_mul_f32 v[208:209], v[58:59], v[208:209]              // 000000005DDC: D3B140D0 1803A13A
	v_pk_mul_f32 v[210:211], v[58:59], v[210:211]              // 000000005DE4: D3B140D2 1803A53A
	v_mul_f32_dpp v58, v38, v21 row_newbcast:1 row_mask:0xf bank_mask:0xf// 000000005DEC: 0A742AFA FF015126
	v_mov_b32_e32 v59, v58                                     // 000000005DF4: 7E76033A
	v_pk_mul_f32 v[224:225], v[58:59], v[224:225]              // 000000005DF8: D3B140E0 1803C13A
	v_pk_mul_f32 v[226:227], v[58:59], v[226:227]              // 000000005E00: D3B140E2 1803C53A
	v_pk_mul_f32 v[240:241], v[58:59], v[240:241]              // 000000005E08: D3B140F0 1803E13A
	v_pk_mul_f32 v[242:243], v[58:59], v[242:243]              // 000000005E10: D3B140F2 1803E53A
	v_mul_f32_dpp v58, v38, v22 row_newbcast:0 row_mask:0xf bank_mask:0xf// 000000005E18: 0A742CFA FF015026
	v_mov_b32_e32 v59, v58                                     // 000000005E20: 7E76033A
	v_pk_mul_f32 v[196:197], v[58:59], v[196:197]              // 000000005E24: D3B140C4 1803893A
	v_pk_mul_f32 v[198:199], v[58:59], v[198:199]              // 000000005E2C: D3B140C6 18038D3A
	v_pk_mul_f32 v[212:213], v[58:59], v[212:213]              // 000000005E34: D3B140D4 1803A93A
	v_pk_mul_f32 v[214:215], v[58:59], v[214:215]              // 000000005E3C: D3B140D6 1803AD3A
	v_mul_f32_dpp v58, v38, v22 row_newbcast:1 row_mask:0xf bank_mask:0xf// 000000005E44: 0A742CFA FF015126
	v_mov_b32_e32 v59, v58                                     // 000000005E4C: 7E76033A
	v_pk_mul_f32 v[228:229], v[58:59], v[228:229]              // 000000005E50: D3B140E4 1803C93A
	v_pk_mul_f32 v[230:231], v[58:59], v[230:231]              // 000000005E58: D3B140E6 1803CD3A
	v_pk_mul_f32 v[244:245], v[58:59], v[244:245]              // 000000005E60: D3B140F4 1803E93A
	v_pk_mul_f32 v[246:247], v[58:59], v[246:247]              // 000000005E68: D3B140F6 1803ED3A
	v_mul_f32_dpp v58, v38, v23 row_newbcast:0 row_mask:0xf bank_mask:0xf// 000000005E70: 0A742EFA FF015026
	v_mov_b32_e32 v59, v58                                     // 000000005E78: 7E76033A
	v_pk_mul_f32 v[200:201], v[58:59], v[200:201]              // 000000005E7C: D3B140C8 1803913A
	v_pk_mul_f32 v[202:203], v[58:59], v[202:203]              // 000000005E84: D3B140CA 1803953A
	v_pk_mul_f32 v[216:217], v[58:59], v[216:217]              // 000000005E8C: D3B140D8 1803B13A
	v_pk_mul_f32 v[218:219], v[58:59], v[218:219]              // 000000005E94: D3B140DA 1803B53A
	v_mul_f32_dpp v58, v38, v23 row_newbcast:1 row_mask:0xf bank_mask:0xf// 000000005E9C: 0A742EFA FF015126
	v_mov_b32_e32 v59, v58                                     // 000000005EA4: 7E76033A
	v_pk_mul_f32 v[232:233], v[58:59], v[232:233]              // 000000005EA8: D3B140E8 1803D13A
	v_pk_mul_f32 v[234:235], v[58:59], v[234:235]              // 000000005EB0: D3B140EA 1803D53A
	v_pk_mul_f32 v[248:249], v[58:59], v[248:249]              // 000000005EB8: D3B140F8 1803F13A
	v_pk_mul_f32 v[250:251], v[58:59], v[250:251]              // 000000005EC0: D3B140FA 1803F53A
	v_mul_f32_dpp v58, v38, v24 row_newbcast:0 row_mask:0xf bank_mask:0xf// 000000005EC8: 0A7430FA FF015026
	v_mov_b32_e32 v59, v58                                     // 000000005ED0: 7E76033A
	v_pk_mul_f32 v[204:205], v[58:59], v[204:205]              // 000000005ED4: D3B140CC 1803993A
	v_pk_mul_f32 v[206:207], v[58:59], v[206:207]              // 000000005EDC: D3B140CE 18039D3A
	v_pk_mul_f32 v[220:221], v[58:59], v[220:221]              // 000000005EE4: D3B140DC 1803B93A
	v_pk_mul_f32 v[222:223], v[58:59], v[222:223]              // 000000005EEC: D3B140DE 1803BD3A
	v_mul_f32_dpp v58, v38, v24 row_newbcast:1 row_mask:0xf bank_mask:0xf// 000000005EF4: 0A7430FA FF015126
	v_mov_b32_e32 v59, v58                                     // 000000005EFC: 7E76033A
	v_pk_mul_f32 v[236:237], v[58:59], v[236:237]              // 000000005F00: D3B140EC 1803D93A
	v_pk_mul_f32 v[238:239], v[58:59], v[238:239]              // 000000005F08: D3B140EE 1803DD3A
	v_pk_mul_f32 v[252:253], v[58:59], v[252:253]              // 000000005F10: D3B140FC 1803F93A
	v_pk_mul_f32 v[254:255], v[58:59], v[254:255]              // 000000005F18: D3B140FE 1803FD3A
	s_add_u32 s56, 0x200, s76                                  // 000000005F20: 80384CFF 00000200
	s_cmp_lt_u32 s56, s77                                      // 000000005F28: BF0A4D38
	s_cselect_b32 s52, s52, 0                                  // 000000005F2C: 85348034
	s_cselect_b32 s74, s74, 0                                  // 000000005F30: 854A804A
	s_cselect_b32 s75, s75, 0                                  // 000000005F34: 854B804B
	s_add_u32 s12, s52, s12                                    // 000000005F38: 800C0C34
	s_addc_u32 s13, 0, s13                                     // 000000005F3C: 820D0D80
	s_add_u32 s16, s75, s16                                    // 000000005F40: 8010104B
	s_addc_u32 s17, 0, s17                                     // 000000005F44: 82111180
	v_mov_b32_e32 v58, v39                                     // 000000005F48: 7E740327
	v_mov_b32_e32 v59, v39                                     // 000000005F4C: 7E760327
	v_pk_mul_f32 v[192:193], v[58:59], v[192:193]              // 000000005F50: D3B140C0 1803813A
	v_pk_mul_f32 v[194:195], v[58:59], v[194:195]              // 000000005F58: D3B140C2 1803853A
	v_pk_mul_f32 v[208:209], v[58:59], v[208:209]              // 000000005F60: D3B140D0 1803A13A
	v_pk_mul_f32 v[210:211], v[58:59], v[210:211]              // 000000005F68: D3B140D2 1803A53A
	v_pk_mul_f32 v[224:225], v[58:59], v[224:225]              // 000000005F70: D3B140E0 1803C13A
	v_pk_mul_f32 v[226:227], v[58:59], v[226:227]              // 000000005F78: D3B140E2 1803C53A
	v_pk_mul_f32 v[240:241], v[58:59], v[240:241]              // 000000005F80: D3B140F0 1803E13A
	v_pk_mul_f32 v[242:243], v[58:59], v[242:243]              // 000000005F88: D3B140F2 1803E53A
	v_mov_b32_e32 v58, v40                                     // 000000005F90: 7E740328
	v_mov_b32_e32 v59, v40                                     // 000000005F94: 7E760328
	v_pk_mul_f32 v[196:197], v[58:59], v[196:197]              // 000000005F98: D3B140C4 1803893A
	v_pk_mul_f32 v[198:199], v[58:59], v[198:199]              // 000000005FA0: D3B140C6 18038D3A
	v_pk_mul_f32 v[212:213], v[58:59], v[212:213]              // 000000005FA8: D3B140D4 1803A93A
	v_pk_mul_f32 v[214:215], v[58:59], v[214:215]              // 000000005FB0: D3B140D6 1803AD3A
	v_pk_mul_f32 v[228:229], v[58:59], v[228:229]              // 000000005FB8: D3B140E4 1803C93A
	v_pk_mul_f32 v[230:231], v[58:59], v[230:231]              // 000000005FC0: D3B140E6 1803CD3A
	v_pk_mul_f32 v[244:245], v[58:59], v[244:245]              // 000000005FC8: D3B140F4 1803E93A
	v_pk_mul_f32 v[246:247], v[58:59], v[246:247]              // 000000005FD0: D3B140F6 1803ED3A
	v_mov_b32_e32 v58, v41                                     // 000000005FD8: 7E740329
	v_mov_b32_e32 v59, v41                                     // 000000005FDC: 7E760329
	v_pk_mul_f32 v[200:201], v[58:59], v[200:201]              // 000000005FE0: D3B140C8 1803913A
	v_pk_mul_f32 v[202:203], v[58:59], v[202:203]              // 000000005FE8: D3B140CA 1803953A
	v_pk_mul_f32 v[216:217], v[58:59], v[216:217]              // 000000005FF0: D3B140D8 1803B13A
	v_pk_mul_f32 v[218:219], v[58:59], v[218:219]              // 000000005FF8: D3B140DA 1803B53A
	v_pk_mul_f32 v[232:233], v[58:59], v[232:233]              // 000000006000: D3B140E8 1803D13A
	v_pk_mul_f32 v[234:235], v[58:59], v[234:235]              // 000000006008: D3B140EA 1803D53A
	v_pk_mul_f32 v[248:249], v[58:59], v[248:249]              // 000000006010: D3B140F8 1803F13A
	v_pk_mul_f32 v[250:251], v[58:59], v[250:251]              // 000000006018: D3B140FA 1803F53A
	v_mov_b32_e32 v58, v42                                     // 000000006020: 7E74032A
	v_mov_b32_e32 v59, v42                                     // 000000006024: 7E76032A
	v_pk_mul_f32 v[204:205], v[58:59], v[204:205]              // 000000006028: D3B140CC 1803993A
	v_pk_mul_f32 v[206:207], v[58:59], v[206:207]              // 000000006030: D3B140CE 18039D3A
	v_pk_mul_f32 v[220:221], v[58:59], v[220:221]              // 000000006038: D3B140DC 1803B93A
	v_pk_mul_f32 v[222:223], v[58:59], v[222:223]              // 000000006040: D3B140DE 1803BD3A
	v_pk_mul_f32 v[236:237], v[58:59], v[236:237]              // 000000006048: D3B140EC 1803D93A
	v_pk_mul_f32 v[238:239], v[58:59], v[238:239]              // 000000006050: D3B140EE 1803DD3A
	v_pk_mul_f32 v[252:253], v[58:59], v[252:253]              // 000000006058: D3B140FC 1803F93A
	v_pk_mul_f32 v[254:255], v[58:59], v[254:255]              // 000000006060: D3B140FE 1803FD3A
	v_cvt_pk_bf16_f32 v192, v192, v193                         // 000000006068: D26800C0 000383C0
	v_cvt_pk_bf16_f32 v193, v194, v195                         // 000000006070: D26800C1 000387C2
	v_cvt_pk_bf16_f32 v194, v196, v197                         // 000000006078: D26800C2 00038BC4
	v_cvt_pk_bf16_f32 v195, v198, v199                         // 000000006080: D26800C3 00038FC6
	v_cvt_pk_bf16_f32 v196, v200, v201                         // 000000006088: D26800C4 000393C8
	v_cvt_pk_bf16_f32 v197, v202, v203                         // 000000006090: D26800C5 000397CA
	v_cvt_pk_bf16_f32 v198, v204, v205                         // 000000006098: D26800C6 00039BCC
	v_cvt_pk_bf16_f32 v199, v206, v207                         // 0000000060A0: D26800C7 00039FCE
	v_cvt_pk_bf16_f32 v200, v208, v209                         // 0000000060A8: D26800C8 0003A3D0
	v_cvt_pk_bf16_f32 v201, v210, v211                         // 0000000060B0: D26800C9 0003A7D2
	v_cvt_pk_bf16_f32 v202, v212, v213                         // 0000000060B8: D26800CA 0003ABD4
	v_cvt_pk_bf16_f32 v203, v214, v215                         // 0000000060C0: D26800CB 0003AFD6
	v_cvt_pk_bf16_f32 v204, v216, v217                         // 0000000060C8: D26800CC 0003B3D8
	v_cvt_pk_bf16_f32 v205, v218, v219                         // 0000000060D0: D26800CD 0003B7DA
	v_cvt_pk_bf16_f32 v206, v220, v221                         // 0000000060D8: D26800CE 0003BBDC
	v_cvt_pk_bf16_f32 v207, v222, v223                         // 0000000060E0: D26800CF 0003BFDE
	v_cvt_pk_bf16_f32 v208, v224, v225                         // 0000000060E8: D26800D0 0003C3E0
	v_cvt_pk_bf16_f32 v209, v226, v227                         // 0000000060F0: D26800D1 0003C7E2
	v_cvt_pk_bf16_f32 v210, v228, v229                         // 0000000060F8: D26800D2 0003CBE4
	v_cvt_pk_bf16_f32 v211, v230, v231                         // 000000006100: D26800D3 0003CFE6
	v_cvt_pk_bf16_f32 v212, v232, v233                         // 000000006108: D26800D4 0003D3E8
	v_cvt_pk_bf16_f32 v213, v234, v235                         // 000000006110: D26800D5 0003D7EA
	v_cvt_pk_bf16_f32 v214, v236, v237                         // 000000006118: D26800D6 0003DBEC
	v_cvt_pk_bf16_f32 v215, v238, v239                         // 000000006120: D26800D7 0003DFEE
	v_cvt_pk_bf16_f32 v216, v240, v241                         // 000000006128: D26800D8 0003E3F0
	v_cvt_pk_bf16_f32 v217, v242, v243                         // 000000006130: D26800D9 0003E7F2
	v_cvt_pk_bf16_f32 v218, v244, v245                         // 000000006138: D26800DA 0003EBF4
	v_cvt_pk_bf16_f32 v219, v246, v247                         // 000000006140: D26800DB 0003EFF6
	v_cvt_pk_bf16_f32 v220, v248, v249                         // 000000006148: D26800DC 0003F3F8
	v_cvt_pk_bf16_f32 v221, v250, v251                         // 000000006150: D26800DD 0003F7FA
	v_cvt_pk_bf16_f32 v222, v252, v253                         // 000000006158: D26800DE 0003FBFC
	v_cvt_pk_bf16_f32 v223, v254, v255                         // 000000006160: D26800DF 0003FFFE
	ds_write_b64 v4, v[192:193]                                // 000000006168: D89A0000 0000C004
	ds_write_b64 v4, v[194:195] offset:8704                    // 000000006170: D89A2200 0000C204
	ds_write_b64 v5, v[196:197]                                // 000000006178: D89A0000 0000C405
	ds_write_b64 v5, v[198:199] offset:8704                    // 000000006180: D89A2200 0000C605
	ds_write_b64 v4, v[200:201] offset:2176                    // 000000006188: D89A0880 0000C804
	ds_write_b64 v4, v[202:203] offset:10880                   // 000000006190: D89A2A80 0000CA04
	ds_write_b64 v5, v[204:205] offset:2176                    // 000000006198: D89A0880 0000CC05
	ds_write_b64 v5, v[206:207] offset:10880                   // 0000000061A0: D89A2A80 0000CE05
	ds_write_b64 v4, v[208:209] offset:4352                    // 0000000061A8: D89A1100 0000D004
	ds_write_b64 v4, v[210:211] offset:13056                   // 0000000061B0: D89A3300 0000D204
	ds_write_b64 v5, v[212:213] offset:4352                    // 0000000061B8: D89A1100 0000D405
	ds_write_b64 v5, v[214:215] offset:13056                   // 0000000061C0: D89A3300 0000D605
	ds_write_b64 v4, v[216:217] offset:6528                    // 0000000061C8: D89A1980 0000D804
	ds_write_b64 v4, v[218:219] offset:15232                   // 0000000061D0: D89A3B80 0000DA04
	ds_write_b64 v5, v[220:221] offset:6528                    // 0000000061D8: D89A1980 0000DC05
	ds_write_b64 v5, v[222:223] offset:15232                   // 0000000061E0: D89A3B80 0000DE05
	s_waitcnt lgkmcnt(0)                                       // 0000000061E8: BF8CC07F
	s_barrier                                                  // 0000000061EC: BF8A0000
	ds_read_b32 v64, v6                                        // 0000000061F0: D86C0000 40000006
	ds_read_b32 v65, v6 offset:4352                            // 0000000061F8: D86C1100 41000006
	ds_read_b32 v66, v6 offset:8                               // 000000006200: D86C0008 42000006
	ds_read_b32 v67, v6 offset:4360                            // 000000006208: D86C1108 43000006
	ds_read_b32 v68, v6 offset:32                              // 000000006210: D86C0020 44000006
	ds_read_b32 v69, v6 offset:4384                            // 000000006218: D86C1120 45000006
	ds_read_b32 v70, v6 offset:40                              // 000000006220: D86C0028 46000006
	ds_read_b32 v71, v6 offset:4392                            // 000000006228: D86C1128 47000006
	ds_read_b32 v72, v6 offset:8704                            // 000000006230: D86C2200 48000006
	ds_read_b32 v73, v6 offset:13056                           // 000000006238: D86C3300 49000006
	ds_read_b32 v74, v6 offset:8712                            // 000000006240: D86C2208 4A000006
	ds_read_b32 v75, v6 offset:13064                           // 000000006248: D86C3308 4B000006
	ds_read_b32 v76, v6 offset:8736                            // 000000006250: D86C2220 4C000006
	ds_read_b32 v77, v6 offset:13088                           // 000000006258: D86C3320 4D000006
	ds_read_b32 v78, v6 offset:8744                            // 000000006260: D86C2228 4E000006
	ds_read_b32 v79, v6 offset:13096                           // 000000006268: D86C3328 4F000006
	ds_read_b32 v80, v7                                        // 000000006270: D86C0000 50000007
	ds_read_b32 v81, v7 offset:4352                            // 000000006278: D86C1100 51000007
	ds_read_b32 v82, v7 offset:8                               // 000000006280: D86C0008 52000007
	ds_read_b32 v83, v7 offset:4360                            // 000000006288: D86C1108 53000007
	ds_read_b32 v84, v7 offset:32                              // 000000006290: D86C0020 54000007
	ds_read_b32 v85, v7 offset:4384                            // 000000006298: D86C1120 55000007
	ds_read_b32 v86, v7 offset:40                              // 0000000062A0: D86C0028 56000007
	ds_read_b32 v87, v7 offset:4392                            // 0000000062A8: D86C1128 57000007
	ds_read_b32 v88, v7 offset:8704                            // 0000000062B0: D86C2200 58000007
	ds_read_b32 v89, v7 offset:13056                           // 0000000062B8: D86C3300 59000007
	ds_read_b32 v90, v7 offset:8712                            // 0000000062C0: D86C2208 5A000007
	ds_read_b32 v91, v7 offset:13064                           // 0000000062C8: D86C3308 5B000007
	ds_read_b32 v92, v7 offset:8736                            // 0000000062D0: D86C2220 5C000007
	ds_read_b32 v93, v7 offset:13088                           // 0000000062D8: D86C3320 5D000007
	ds_read_b32 v94, v7 offset:8744                            // 0000000062E0: D86C2228 5E000007
	ds_read_b32 v95, v7 offset:13096                           // 0000000062E8: D86C3328 5F000007
	s_waitcnt lgkmcnt(0)                                       // 0000000062F0: BF8CC07F
	s_setvskip s20, 0                                          // 0000000062F4: BF108014
	global_atomic_pk_add_bf16 v96, v64, s[8:9]                 // 0000000062F8: DD488000 00084060
	s_setvskip 0, 0                                            // 000000006300: BF108080
	s_setvskip s20, 0                                          // 000000006304: BF108014
	global_atomic_pk_add_bf16 v96, v65, s[8:9] offset:256      // 000000006308: DD488100 00084160
	s_setvskip 0, 0                                            // 000000006310: BF108080
	s_setvskip s20, 1                                          // 000000006314: BF108114
	global_atomic_pk_add_bf16 v98, v66, s[8:9]                 // 000000006318: DD488000 00084262
	s_setvskip 0, 0                                            // 000000006320: BF108080
	s_setvskip s20, 1                                          // 000000006324: BF108114
	global_atomic_pk_add_bf16 v98, v67, s[8:9] offset:256      // 000000006328: DD488100 00084362
	s_setvskip 0, 0                                            // 000000006330: BF108080
	s_setvskip s20, 2                                          // 000000006334: BF108214
	global_atomic_pk_add_bf16 v100, v68, s[8:9]                // 000000006338: DD488000 00084464
	s_setvskip 0, 0                                            // 000000006340: BF108080
	s_setvskip s20, 2                                          // 000000006344: BF108214
	global_atomic_pk_add_bf16 v100, v69, s[8:9] offset:256     // 000000006348: DD488100 00084564
	s_setvskip 0, 0                                            // 000000006350: BF108080
	s_setvskip s20, 3                                          // 000000006354: BF108314
	global_atomic_pk_add_bf16 v102, v70, s[8:9]                // 000000006358: DD488000 00084666
	s_setvskip 0, 0                                            // 000000006360: BF108080
	s_setvskip s20, 3                                          // 000000006364: BF108314
	global_atomic_pk_add_bf16 v102, v71, s[8:9] offset:256     // 000000006368: DD488100 00084766
	s_setvskip 0, 0                                            // 000000006370: BF108080
	s_setvskip s20, 4                                          // 000000006374: BF108414
	global_atomic_pk_add_bf16 v104, v72, s[8:9]                // 000000006378: DD488000 00084868
	s_setvskip 0, 0                                            // 000000006380: BF108080
	s_setvskip s20, 4                                          // 000000006384: BF108414
	global_atomic_pk_add_bf16 v104, v73, s[8:9] offset:256     // 000000006388: DD488100 00084968
	s_setvskip 0, 0                                            // 000000006390: BF108080
	s_setvskip s20, 5                                          // 000000006394: BF108514
	global_atomic_pk_add_bf16 v106, v74, s[8:9]                // 000000006398: DD488000 00084A6A
	s_setvskip 0, 0                                            // 0000000063A0: BF108080
	s_setvskip s20, 5                                          // 0000000063A4: BF108514
	global_atomic_pk_add_bf16 v106, v75, s[8:9] offset:256     // 0000000063A8: DD488100 00084B6A
	s_setvskip 0, 0                                            // 0000000063B0: BF108080
	s_setvskip s20, 6                                          // 0000000063B4: BF108614
	global_atomic_pk_add_bf16 v108, v76, s[8:9]                // 0000000063B8: DD488000 00084C6C
	s_setvskip 0, 0                                            // 0000000063C0: BF108080
	s_setvskip s20, 6                                          // 0000000063C4: BF108614
	global_atomic_pk_add_bf16 v108, v77, s[8:9] offset:256     // 0000000063C8: DD488100 00084D6C
	s_setvskip 0, 0                                            // 0000000063D0: BF108080
	s_setvskip s20, 7                                          // 0000000063D4: BF108714
	global_atomic_pk_add_bf16 v110, v78, s[8:9]                // 0000000063D8: DD488000 00084E6E
	s_setvskip 0, 0                                            // 0000000063E0: BF108080
	s_setvskip s20, 7                                          // 0000000063E4: BF108714
	global_atomic_pk_add_bf16 v110, v79, s[8:9] offset:256     // 0000000063E8: DD488100 00084F6E
	s_setvskip 0, 0                                            // 0000000063F0: BF108080
	s_setvskip s20, 8                                          // 0000000063F4: BF108814
	global_atomic_pk_add_bf16 v112, v80, s[8:9]                // 0000000063F8: DD488000 00085070
	s_setvskip 0, 0                                            // 000000006400: BF108080
	s_setvskip s20, 8                                          // 000000006404: BF108814
	global_atomic_pk_add_bf16 v112, v81, s[8:9] offset:256     // 000000006408: DD488100 00085170
	s_setvskip 0, 0                                            // 000000006410: BF108080
	s_setvskip s20, 9                                          // 000000006414: BF108914
	global_atomic_pk_add_bf16 v114, v82, s[8:9]                // 000000006418: DD488000 00085272
	s_setvskip 0, 0                                            // 000000006420: BF108080
	s_setvskip s20, 9                                          // 000000006424: BF108914
	global_atomic_pk_add_bf16 v114, v83, s[8:9] offset:256     // 000000006428: DD488100 00085372
	s_setvskip 0, 0                                            // 000000006430: BF108080
	s_setvskip s20, 10                                         // 000000006434: BF108A14
	global_atomic_pk_add_bf16 v116, v84, s[8:9]                // 000000006438: DD488000 00085474
	s_setvskip 0, 0                                            // 000000006440: BF108080
	s_setvskip s20, 10                                         // 000000006444: BF108A14
	global_atomic_pk_add_bf16 v116, v85, s[8:9] offset:256     // 000000006448: DD488100 00085574
	s_setvskip 0, 0                                            // 000000006450: BF108080
	s_setvskip s20, 11                                         // 000000006454: BF108B14
	global_atomic_pk_add_bf16 v118, v86, s[8:9]                // 000000006458: DD488000 00085676
	s_setvskip 0, 0                                            // 000000006460: BF108080
	s_setvskip s20, 11                                         // 000000006464: BF108B14
	global_atomic_pk_add_bf16 v118, v87, s[8:9] offset:256     // 000000006468: DD488100 00085776
	s_setvskip 0, 0                                            // 000000006470: BF108080
	s_setvskip s20, 12                                         // 000000006474: BF108C14
	global_atomic_pk_add_bf16 v120, v88, s[8:9]                // 000000006478: DD488000 00085878
	s_setvskip 0, 0                                            // 000000006480: BF108080
	s_setvskip s20, 12                                         // 000000006484: BF108C14
	global_atomic_pk_add_bf16 v120, v89, s[8:9] offset:256     // 000000006488: DD488100 00085978
	s_setvskip 0, 0                                            // 000000006490: BF108080
	s_setvskip s20, 13                                         // 000000006494: BF108D14
	global_atomic_pk_add_bf16 v122, v90, s[8:9]                // 000000006498: DD488000 00085A7A
	s_setvskip 0, 0                                            // 0000000064A0: BF108080
	s_setvskip s20, 13                                         // 0000000064A4: BF108D14
	global_atomic_pk_add_bf16 v122, v91, s[8:9] offset:256     // 0000000064A8: DD488100 00085B7A
	s_setvskip 0, 0                                            // 0000000064B0: BF108080
	s_setvskip s20, 14                                         // 0000000064B4: BF108E14
	global_atomic_pk_add_bf16 v124, v92, s[8:9]                // 0000000064B8: DD488000 00085C7C
	s_setvskip 0, 0                                            // 0000000064C0: BF108080
	s_setvskip s20, 14                                         // 0000000064C4: BF108E14
	global_atomic_pk_add_bf16 v124, v93, s[8:9] offset:256     // 0000000064C8: DD488100 00085D7C
	s_setvskip 0, 0                                            // 0000000064D0: BF108080
	s_setvskip s20, 15                                         // 0000000064D4: BF108F14
	global_atomic_pk_add_bf16 v126, v94, s[8:9]                // 0000000064D8: DD488000 00085E7E
	s_setvskip 0, 0                                            // 0000000064E0: BF108080
	s_setvskip s20, 15                                         // 0000000064E4: BF108F14
	global_atomic_pk_add_bf16 v126, v95, s[8:9] offset:256     // 0000000064E8: DD488100 00085F7E
	s_setvskip 0, 0                                            // 0000000064F0: BF108080
	s_add_u32 s8, s55, s8                                      // 0000000064F4: 80080837
	s_addc_u32 s9, 0, s9                                       // 0000000064F8: 82090980
	s_addk_i32 s76, 0x100                                      // 0000000064FC: B74C0100
	s_cmp_lt_i32 s76, s77                                      // 000000006500: BF044D4C
	s_cbranch_scc0 label_0DC3                                  // 000000006504: BF840001
	s_branch label_09B0                                        // 000000006508: BF82FBED

000000000000650c <label_0DC3>:
	s_nop 0                                                    // 00000000650C: BF800000
	s_nop 0                                                    // 000000006510: BF800000
	s_branch label_178E                                        // 000000006514: BF8209C8

0000000000006518 <label_0DC6>:
	s_waitcnt vmcnt(6) lgkmcnt(0)                              // 000000006518: BF8C0076
	s_barrier                                                  // 00000000651C: BF8A0000
	v_mfma_f32_16x16x128_f8f6f4 v[128:131], a[0:7], a[64:71], 0// 000000006520: D3AD0080 1A028100
	buffer_load_dwordx4 v43, s[20:23], 0 offen lds             // 000000006528: E05D1000 8005002B
	s_add_u32 m0, 0x1080, s49                                  // 000000006530: 807C31FF 00001080
	buffer_load_dwordx4 v44, s[20:23], 0 offen lds             // 000000006538: E05D1000 8005002C
	s_add_u32 m0, 0, s51                                       // 000000006540: 807C3380
	buffer_load_dwordx4 v45, s[20:23], 0 offen lds             // 000000006544: E05D1000 8005002D
	s_add_u32 m0, 0x1080, s51                                  // 00000000654C: 807C33FF 00001080
	buffer_load_dwordx4 v46, s[20:23], 0 offen lds             // 000000006554: E05D1000 8005002E
	s_add_u32 m0, 0x1080, s49                                  // 00000000655C: 807C31FF 00001080
	s_add_u32 m0, m0, s72                                      // 000000006564: 807C487C
	buffer_load_dword v9, s[28:31], 0 offen lds                // 000000006568: E0511000 80070009
	s_add_u32 m0, m0, 0x4a00                                   // 000000006570: 807CFF7C 00004A00
	buffer_load_dword v11, s[28:31], 0 offen lds               // 000000006578: E0511000 8007000B
	s_add_u32 m0, 0, s48                                       // 000000006580: 807C3080
	buffer_load_dword v38, v19, s[32:35], 0 offen              // 000000006584: E0501000 80082613
	buffer_load_dwordx4 a[32:35], v47, s[96:99], 0 offen       // 00000000658C: E05C1000 8098202F
	buffer_load_dwordx4 a[36:39], v47, s[96:99], 0 offen offset:1024// 000000006594: E05C1400 8098242F
	v_mfma_f32_16x16x128_f8f6f4 v[132:135], a[0:7], a[80:87], 0// 00000000659C: D3AD0084 1A02A100
	v_mfma_f32_16x16x128_f8f6f4 v[136:139], a[0:7], a[96:103], 0// 0000000065A4: D3AD0088 1A02C100
	buffer_load_dwordx4 a[40:43], v48, s[96:99], 0 offen       // 0000000065AC: E05C1000 80982830
	buffer_load_dwordx4 a[44:47], v48, s[96:99], 0 offen offset:1024// 0000000065B4: E05C1400 80982C30
	v_mfma_f32_16x16x128_f8f6f4 v[140:143], a[0:7], a[112:119], 0// 0000000065BC: D3AD008C 1A02E100
	s_waitcnt vmcnt(15)                                        // 0000000065C4: BF8C0F7F
	v_mfma_f32_16x16x128_f8f6f4 v[144:147], a[8:15], a[64:71], 0// 0000000065C8: D3AD0090 1A028108
	buffer_load_dwordx4 a[48:51], v47, s[96:99], 0 offen offset:2048// 0000000065D0: E05C1800 8098302F
	buffer_load_dwordx4 a[52:55], v47, s[96:99], 0 offen offset:3072// 0000000065D8: E05C1C00 8098342F
	v_mfma_f32_16x16x128_f8f6f4 v[148:151], a[8:15], a[80:87], 0// 0000000065E0: D3AD0094 1A02A108
	v_mfma_f32_16x16x128_f8f6f4 v[152:155], a[8:15], a[96:103], 0// 0000000065E8: D3AD0098 1A02C108
	buffer_load_dwordx4 a[56:59], v48, s[96:99], 0 offen offset:2048// 0000000065F0: E05C1800 80983830
	buffer_load_dwordx4 a[60:63], v48, s[96:99], 0 offen offset:3072// 0000000065F8: E05C1C00 80983C30
	v_mfma_f32_16x16x128_f8f6f4 v[156:159], a[8:15], a[112:119], 0// 000000006600: D3AD009C 1A02E108
	v_mul_f32_dpp v58, v37, v21 row_newbcast:0 row_mask:0xf bank_mask:0xf// 000000006608: 0A742AFA FF015025
	v_mov_b32_e32 v59, v58                                     // 000000006610: 7E76033A
	v_pk_fma_f32 v[64:65], v[128:129], v[58:59], v[64:65]      // 000000006614: D3B04040 1D027580
	v_pk_fma_f32 v[66:67], v[130:131], v[58:59], v[66:67]      // 00000000661C: D3B04042 1D0A7582
	v_pk_fma_f32 v[80:81], v[144:145], v[58:59], v[80:81]      // 000000006624: D3B04050 1D427590
	v_pk_fma_f32 v[82:83], v[146:147], v[58:59], v[82:83]      // 00000000662C: D3B04052 1D4A7592
	v_mul_f32_dpp v58, v37, v22 row_newbcast:0 row_mask:0xf bank_mask:0xf// 000000006634: 0A742CFA FF015025
	v_mov_b32_e32 v59, v58                                     // 00000000663C: 7E76033A
	v_pk_fma_f32 v[68:69], v[132:133], v[58:59], v[68:69]      // 000000006640: D3B04044 1D127584
	v_pk_fma_f32 v[70:71], v[134:135], v[58:59], v[70:71]      // 000000006648: D3B04046 1D1A7586
	v_pk_fma_f32 v[84:85], v[148:149], v[58:59], v[84:85]      // 000000006650: D3B04054 1D527594
	v_pk_fma_f32 v[86:87], v[150:151], v[58:59], v[86:87]      // 000000006658: D3B04056 1D5A7596
	v_mul_f32_dpp v58, v37, v23 row_newbcast:0 row_mask:0xf bank_mask:0xf// 000000006660: 0A742EFA FF015025
	v_mov_b32_e32 v59, v58                                     // 000000006668: 7E76033A
	v_pk_fma_f32 v[72:73], v[136:137], v[58:59], v[72:73]      // 00000000666C: D3B04048 1D227588
	v_pk_fma_f32 v[74:75], v[138:139], v[58:59], v[74:75]      // 000000006674: D3B0404A 1D2A758A
	v_pk_fma_f32 v[88:89], v[152:153], v[58:59], v[88:89]      // 00000000667C: D3B04058 1D627598
	v_pk_fma_f32 v[90:91], v[154:155], v[58:59], v[90:91]      // 000000006684: D3B0405A 1D6A759A
	v_mul_f32_dpp v58, v37, v24 row_newbcast:0 row_mask:0xf bank_mask:0xf// 00000000668C: 0A7430FA FF015025
	v_mov_b32_e32 v59, v58                                     // 000000006694: 7E76033A
	v_pk_fma_f32 v[76:77], v[140:141], v[58:59], v[76:77]      // 000000006698: D3B0404C 1D32758C
	v_pk_fma_f32 v[78:79], v[142:143], v[58:59], v[78:79]      // 0000000066A0: D3B0404E 1D3A758E
	v_pk_fma_f32 v[92:93], v[156:157], v[58:59], v[92:93]      // 0000000066A8: D3B0405C 1D72759C
	v_pk_fma_f32 v[94:95], v[158:159], v[58:59], v[94:95]      // 0000000066B0: D3B0405E 1D7A759E
	s_waitcnt vmcnt(17)                                        // 0000000066B8: BF8C4F71
	v_mfma_f32_16x16x128_f8f6f4 v[128:131], a[16:23], a[72:79], 0// 0000000066BC: D3AD0080 1A029110
	v_mfma_f32_16x16x128_f8f6f4 v[132:135], a[16:23], a[88:95], 0// 0000000066C4: D3AD0084 1A02B110
	v_mfma_f32_16x16x128_f8f6f4 v[136:139], a[16:23], a[104:111], 0// 0000000066CC: D3AD0088 1A02D110
	v_mfma_f32_16x16x128_f8f6f4 v[140:143], a[16:23], a[120:127], 0// 0000000066D4: D3AD008C 1A02F110
	s_waitcnt vmcnt(15)                                        // 0000000066DC: BF8C0F7F
	v_mfma_f32_16x16x128_f8f6f4 v[144:147], a[24:31], a[72:79], 0// 0000000066E0: D3AD0090 1A029118
	v_mfma_f32_16x16x128_f8f6f4 v[148:151], a[24:31], a[88:95], 0// 0000000066E8: D3AD0094 1A02B118
	v_mfma_f32_16x16x128_f8f6f4 v[152:155], a[24:31], a[104:111], 0// 0000000066F0: D3AD0098 1A02D118
	v_mfma_f32_16x16x128_f8f6f4 v[156:159], a[24:31], a[120:127], 0// 0000000066F8: D3AD009C 1A02F118
	v_mul_f32_dpp v58, v37, v25 row_newbcast:2 row_mask:0xf bank_mask:0xf// 000000006700: 0A7432FA FF015225
	v_mov_b32_e32 v59, v58                                     // 000000006708: 7E76033A
	v_pk_fma_f32 v[64:65], v[128:129], v[58:59], v[64:65]      // 00000000670C: D3B04040 1D027580
	v_pk_fma_f32 v[66:67], v[130:131], v[58:59], v[66:67]      // 000000006714: D3B04042 1D0A7582
	v_pk_fma_f32 v[80:81], v[144:145], v[58:59], v[80:81]      // 00000000671C: D3B04050 1D427590
	v_pk_fma_f32 v[82:83], v[146:147], v[58:59], v[82:83]      // 000000006724: D3B04052 1D4A7592
	v_mul_f32_dpp v58, v37, v26 row_newbcast:2 row_mask:0xf bank_mask:0xf// 00000000672C: 0A7434FA FF015225
	v_mov_b32_e32 v59, v58                                     // 000000006734: 7E76033A
	v_pk_fma_f32 v[68:69], v[132:133], v[58:59], v[68:69]      // 000000006738: D3B04044 1D127584
	v_pk_fma_f32 v[70:71], v[134:135], v[58:59], v[70:71]      // 000000006740: D3B04046 1D1A7586
	v_pk_fma_f32 v[84:85], v[148:149], v[58:59], v[84:85]      // 000000006748: D3B04054 1D527594
	v_pk_fma_f32 v[86:87], v[150:151], v[58:59], v[86:87]      // 000000006750: D3B04056 1D5A7596
	v_mul_f32_dpp v58, v37, v27 row_newbcast:2 row_mask:0xf bank_mask:0xf// 000000006758: 0A7436FA FF015225
	v_mov_b32_e32 v59, v58                                     // 000000006760: 7E76033A
	v_pk_fma_f32 v[72:73], v[136:137], v[58:59], v[72:73]      // 000000006764: D3B04048 1D227588
	v_pk_fma_f32 v[74:75], v[138:139], v[58:59], v[74:75]      // 00000000676C: D3B0404A 1D2A758A
	v_pk_fma_f32 v[88:89], v[152:153], v[58:59], v[88:89]      // 000000006774: D3B04058 1D627598
	v_pk_fma_f32 v[90:91], v[154:155], v[58:59], v[90:91]      // 00000000677C: D3B0405A 1D6A759A
	v_mul_f32_dpp v58, v37, v28 row_newbcast:2 row_mask:0xf bank_mask:0xf// 000000006784: 0A7438FA FF015225
	v_mov_b32_e32 v59, v58                                     // 00000000678C: 7E76033A
	v_pk_fma_f32 v[76:77], v[140:141], v[58:59], v[76:77]      // 000000006790: D3B0404C 1D32758C
	v_pk_fma_f32 v[78:79], v[142:143], v[58:59], v[78:79]      // 000000006798: D3B0404E 1D3A758E
	v_pk_fma_f32 v[92:93], v[156:157], v[58:59], v[92:93]      // 0000000067A0: D3B0405C 1D72759C
	v_pk_fma_f32 v[94:95], v[158:159], v[58:59], v[94:95]      // 0000000067A8: D3B0405E 1D7A759E
	s_add_u32 s56, 0x100, s76                                  // 0000000067B0: 80384CFF 00000100
	s_cmp_lt_u32 s56, s77                                      // 0000000067B8: BF0A4D38
	s_cselect_b32 s4, s4, 0                                    // 0000000067BC: 85048004
	s_add_u32 s32, s4, s32                                     // 0000000067C0: 80202004
	s_addc_u32 s33, 0, s33                                     // 0000000067C4: 82212180
	s_waitcnt vmcnt(6)                                         // 0000000067C8: BF8C0F76
	s_barrier                                                  // 0000000067CC: BF8A0000
	v_mfma_f32_16x16x128_f8f6f4 v[128:131], a[32:39], a[64:71], 0// 0000000067D0: D3AD0080 1A028120
	buffer_load_dword v37, v17, s[32:35], 0 offen              // 0000000067D8: E0501000 80082511
	buffer_load_dwordx4 a[0:3], v47, s[24:27], 0 offen         // 0000000067E0: E05C1000 8086002F
	buffer_load_dwordx4 a[4:7], v47, s[24:27], 0 offen offset:1024// 0000000067E8: E05C1400 8086042F
	v_mfma_f32_16x16x128_f8f6f4 v[132:135], a[32:39], a[80:87], 0// 0000000067F0: D3AD0084 1A02A120
	v_mfma_f32_16x16x128_f8f6f4 v[136:139], a[32:39], a[96:103], 0// 0000000067F8: D3AD0088 1A02C120
	buffer_load_dwordx4 a[8:11], v48, s[24:27], 0 offen        // 000000006800: E05C1000 80860830
	buffer_load_dwordx4 a[12:15], v48, s[24:27], 0 offen offset:1024// 000000006808: E05C1400 80860C30
	v_mfma_f32_16x16x128_f8f6f4 v[140:143], a[32:39], a[112:119], 0// 000000006810: D3AD008C 1A02E120
	s_waitcnt vmcnt(9)                                         // 000000006818: BF8C0F79
	v_mfma_f32_16x16x128_f8f6f4 v[144:147], a[40:47], a[64:71], 0// 00000000681C: D3AD0090 1A028128
	buffer_load_dwordx4 a[16:19], v47, s[24:27], 0 offen offset:2048// 000000006824: E05C1800 8086102F
	buffer_load_dwordx4 a[20:23], v47, s[24:27], 0 offen offset:3072// 00000000682C: E05C1C00 8086142F
	v_mfma_f32_16x16x128_f8f6f4 v[148:151], a[40:47], a[80:87], 0// 000000006834: D3AD0094 1A02A128
	v_mfma_f32_16x16x128_f8f6f4 v[152:155], a[40:47], a[96:103], 0// 00000000683C: D3AD0098 1A02C128
	buffer_load_dwordx4 a[24:27], v48, s[24:27], 0 offen offset:2048// 000000006844: E05C1800 80861830
	buffer_load_dwordx4 a[28:31], v48, s[24:27], 0 offen offset:3072// 00000000684C: E05C1C00 80861C30
	v_mfma_f32_16x16x128_f8f6f4 v[156:159], a[40:47], a[112:119], 0// 000000006854: D3AD009C 1A02E128
	v_mul_f32_dpp v58, v38, v21 row_newbcast:0 row_mask:0xf bank_mask:0xf// 00000000685C: 0A742AFA FF015026
	v_mov_b32_e32 v59, v58                                     // 000000006864: 7E76033A
	v_pk_fma_f32 v[96:97], v[128:129], v[58:59], v[96:97]      // 000000006868: D3B04060 1D827580
	v_pk_fma_f32 v[98:99], v[130:131], v[58:59], v[98:99]      // 000000006870: D3B04062 1D8A7582
	v_pk_fma_f32 v[112:113], v[144:145], v[58:59], v[112:113]  // 000000006878: D3B04070 1DC27590
	v_pk_fma_f32 v[114:115], v[146:147], v[58:59], v[114:115]  // 000000006880: D3B04072 1DCA7592
	v_mul_f32_dpp v58, v38, v22 row_newbcast:0 row_mask:0xf bank_mask:0xf// 000000006888: 0A742CFA FF015026
	v_mov_b32_e32 v59, v58                                     // 000000006890: 7E76033A
	v_pk_fma_f32 v[100:101], v[132:133], v[58:59], v[100:101]  // 000000006894: D3B04064 1D927584
	v_pk_fma_f32 v[102:103], v[134:135], v[58:59], v[102:103]  // 00000000689C: D3B04066 1D9A7586
	v_pk_fma_f32 v[116:117], v[148:149], v[58:59], v[116:117]  // 0000000068A4: D3B04074 1DD27594
	v_pk_fma_f32 v[118:119], v[150:151], v[58:59], v[118:119]  // 0000000068AC: D3B04076 1DDA7596
	v_mul_f32_dpp v58, v38, v23 row_newbcast:0 row_mask:0xf bank_mask:0xf// 0000000068B4: 0A742EFA FF015026
	v_mov_b32_e32 v59, v58                                     // 0000000068BC: 7E76033A
	v_pk_fma_f32 v[104:105], v[136:137], v[58:59], v[104:105]  // 0000000068C0: D3B04068 1DA27588
	v_pk_fma_f32 v[106:107], v[138:139], v[58:59], v[106:107]  // 0000000068C8: D3B0406A 1DAA758A
	v_pk_fma_f32 v[120:121], v[152:153], v[58:59], v[120:121]  // 0000000068D0: D3B04078 1DE27598
	v_pk_fma_f32 v[122:123], v[154:155], v[58:59], v[122:123]  // 0000000068D8: D3B0407A 1DEA759A
	v_mul_f32_dpp v58, v38, v24 row_newbcast:0 row_mask:0xf bank_mask:0xf// 0000000068E0: 0A7430FA FF015026
	v_mov_b32_e32 v59, v58                                     // 0000000068E8: 7E76033A
	v_pk_fma_f32 v[108:109], v[140:141], v[58:59], v[108:109]  // 0000000068EC: D3B0406C 1DB2758C
	v_pk_fma_f32 v[110:111], v[142:143], v[58:59], v[110:111]  // 0000000068F4: D3B0406E 1DBA758E
	v_pk_fma_f32 v[124:125], v[156:157], v[58:59], v[124:125]  // 0000000068FC: D3B0407C 1DF2759C
	v_pk_fma_f32 v[126:127], v[158:159], v[58:59], v[126:127]  // 000000006904: D3B0407E 1DFA759E
	s_waitcnt vmcnt(11)                                        // 00000000690C: BF8C0F7B
	v_mfma_f32_16x16x128_f8f6f4 v[128:131], a[48:55], a[72:79], 0// 000000006910: D3AD0080 1A029130
	v_mfma_f32_16x16x128_f8f6f4 v[132:135], a[48:55], a[88:95], 0// 000000006918: D3AD0084 1A02B130
	ds_read_b128 a[128:131], v2 offset:9472                    // 000000006920: DBFE2500 80000002
	ds_read_b128 a[132:135], v2 offset:9536                    // 000000006928: DBFE2540 84000002
	ds_read_b128 a[136:139], v2 offset:13696                   // 000000006930: DBFE3580 88000002
	ds_read_b128 a[140:143], v2 offset:13760                   // 000000006938: DBFE35C0 8C000002
	ds_read_b32 v29, v3 offset:17920                           // 000000006940: D86C4600 1D000003
	ds_read_b32 v30, v3 offset:18176                           // 000000006948: D86C4700 1E000003
	v_mfma_f32_16x16x128_f8f6f4 v[136:139], a[48:55], a[104:111], 0// 000000006950: D3AD0088 1A02D130
	v_mfma_f32_16x16x128_f8f6f4 v[140:143], a[48:55], a[120:127], 0// 000000006958: D3AD008C 1A02F130
	ds_read_b128 a[144:147], v2 offset:9984                    // 000000006960: DBFE2700 90000002
	ds_read_b128 a[148:151], v2 offset:10048                   // 000000006968: DBFE2740 94000002
	ds_read_b128 a[152:155], v2 offset:14208                   // 000000006970: DBFE3780 98000002
	ds_read_b128 a[156:159], v2 offset:14272                   // 000000006978: DBFE37C0 9C000002
	ds_read_b32 v31, v3 offset:36864                           // 000000006980: D86C9000 1F000003
	ds_read_b32 v32, v3 offset:37120                           // 000000006988: D86C9100 20000003
	s_waitcnt vmcnt(9)                                         // 000000006990: BF8C0F79
	v_mfma_f32_16x16x128_f8f6f4 v[144:147], a[56:63], a[72:79], 0// 000000006994: D3AD0090 1A029138
	v_mfma_f32_16x16x128_f8f6f4 v[148:151], a[56:63], a[88:95], 0// 00000000699C: D3AD0094 1A02B138
	ds_read_b128 a[160:163], v2 offset:28416                   // 0000000069A4: DBFE6F00 A0000002
	ds_read_b128 a[164:167], v2 offset:28480                   // 0000000069AC: DBFE6F40 A4000002
	ds_read_b128 a[168:171], v2 offset:32640                   // 0000000069B4: DBFE7F80 A8000002
	ds_read_b128 a[172:175], v2 offset:32704                   // 0000000069BC: DBFE7FC0 AC000002
	ds_read_b32 v33, v3 offset:18432                           // 0000000069C4: D86C4800 21000003
	ds_read_b32 v34, v3 offset:18688                           // 0000000069CC: D86C4900 22000003
	v_mfma_f32_16x16x128_f8f6f4 v[152:155], a[56:63], a[104:111], 0// 0000000069D4: D3AD0098 1A02D138
	v_mfma_f32_16x16x128_f8f6f4 v[156:159], a[56:63], a[120:127], 0// 0000000069DC: D3AD009C 1A02F138
	ds_read_b128 a[176:179], v2 offset:28928                   // 0000000069E4: DBFE7100 B0000002
	ds_read_b128 a[180:183], v2 offset:28992                   // 0000000069EC: DBFE7140 B4000002
	ds_read_b128 a[184:187], v2 offset:33152                   // 0000000069F4: DBFE8180 B8000002
	ds_read_b128 a[188:191], v2 offset:33216                   // 0000000069FC: DBFE81C0 BC000002
	ds_read_b32 v35, v3 offset:37376                           // 000000006A04: D86C9200 23000003
	ds_read_b32 v36, v3 offset:37632                           // 000000006A0C: D86C9300 24000003
	v_mul_f32_dpp v58, v38, v25 row_newbcast:2 row_mask:0xf bank_mask:0xf// 000000006A14: 0A7432FA FF015226
	v_mov_b32_e32 v59, v58                                     // 000000006A1C: 7E76033A
	v_pk_fma_f32 v[96:97], v[128:129], v[58:59], v[96:97]      // 000000006A20: D3B04060 1D827580
	v_pk_fma_f32 v[98:99], v[130:131], v[58:59], v[98:99]      // 000000006A28: D3B04062 1D8A7582
	v_pk_fma_f32 v[112:113], v[144:145], v[58:59], v[112:113]  // 000000006A30: D3B04070 1DC27590
	v_pk_fma_f32 v[114:115], v[146:147], v[58:59], v[114:115]  // 000000006A38: D3B04072 1DCA7592
	v_mul_f32_dpp v58, v38, v26 row_newbcast:2 row_mask:0xf bank_mask:0xf// 000000006A40: 0A7434FA FF015226
	v_mov_b32_e32 v59, v58                                     // 000000006A48: 7E76033A
	v_pk_fma_f32 v[100:101], v[132:133], v[58:59], v[100:101]  // 000000006A4C: D3B04064 1D927584
	v_pk_fma_f32 v[102:103], v[134:135], v[58:59], v[102:103]  // 000000006A54: D3B04066 1D9A7586
	v_pk_fma_f32 v[116:117], v[148:149], v[58:59], v[116:117]  // 000000006A5C: D3B04074 1DD27594
	v_pk_fma_f32 v[118:119], v[150:151], v[58:59], v[118:119]  // 000000006A64: D3B04076 1DDA7596
	v_mul_f32_dpp v58, v38, v27 row_newbcast:2 row_mask:0xf bank_mask:0xf// 000000006A6C: 0A7436FA FF015226
	v_mov_b32_e32 v59, v58                                     // 000000006A74: 7E76033A
	v_pk_fma_f32 v[104:105], v[136:137], v[58:59], v[104:105]  // 000000006A78: D3B04068 1DA27588
	v_pk_fma_f32 v[106:107], v[138:139], v[58:59], v[106:107]  // 000000006A80: D3B0406A 1DAA758A
	v_pk_fma_f32 v[120:121], v[152:153], v[58:59], v[120:121]  // 000000006A88: D3B04078 1DE27598
	v_pk_fma_f32 v[122:123], v[154:155], v[58:59], v[122:123]  // 000000006A90: D3B0407A 1DEA759A
	v_mul_f32_dpp v58, v38, v28 row_newbcast:2 row_mask:0xf bank_mask:0xf// 000000006A98: 0A7438FA FF015226
	v_mov_b32_e32 v59, v58                                     // 000000006AA0: 7E76033A
	v_pk_fma_f32 v[108:109], v[140:141], v[58:59], v[108:109]  // 000000006AA4: D3B0406C 1DB2758C
	v_pk_fma_f32 v[110:111], v[142:143], v[58:59], v[110:111]  // 000000006AAC: D3B0406E 1DBA758E
	v_pk_fma_f32 v[124:125], v[156:157], v[58:59], v[124:125]  // 000000006AB4: D3B0407C 1DF2759C
	v_pk_fma_f32 v[126:127], v[158:159], v[58:59], v[126:127]  // 000000006ABC: D3B0407E 1DFA759E
	s_add_u32 s56, 0x200, s76                                  // 000000006AC4: 80384CFF 00000200
	s_cmp_lt_u32 s56, s77                                      // 000000006ACC: BF0A4D38
	s_cselect_b32 s53, s53, 0                                  // 000000006AD0: 85358035
	s_cselect_b32 s3, s3, 0                                    // 000000006AD4: 85038003
	s_add_u32 s56, 0x200, s76                                  // 000000006AD8: 80384CFF 00000200
	s_cmp_lt_u32 s56, s77                                      // 000000006AE0: BF0A4D38
	s_cselect_b32 s54, s54, 0                                  // 000000006AE4: 85368036
	s_add_u32 s20, s53, s20                                    // 000000006AE8: 80141435
	s_addc_u32 s21, 0, s21                                     // 000000006AEC: 82151580
	s_add_u32 s28, s3, s28                                     // 000000006AF0: 801C1C03
	s_addc_u32 s29, 0, s29                                     // 000000006AF4: 821D1D80
	s_add_u32 s24, s54, s24                                    // 000000006AF8: 80181836
	s_addc_u32 s25, 0, s25                                     // 000000006AFC: 82191980
	s_add_u32 s96, s94, s96                                    // 000000006B00: 8060605E
	s_addc_u32 s97, 0, s97                                     // 000000006B04: 82616180
	s_addk_i32 s76, 0x100                                      // 000000006B08: B74C0100
	s_cmp_lt_i32 s76, s77                                      // 000000006B0C: BF044D4C
	s_cbranch_scc0 label_10C5                                  // 000000006B10: BF840180
	s_waitcnt vmcnt(6) lgkmcnt(0)                              // 000000006B14: BF8C0076
	s_barrier                                                  // 000000006B18: BF8A0000
	v_mfma_f32_16x16x128_f8f6f4 v[128:131], a[0:7], a[128:135], 0// 000000006B1C: D3AD0080 1A030100
	buffer_load_dwordx4 v43, s[20:23], 0 offen lds             // 000000006B24: E05D1000 8005002B
	s_add_u32 m0, 0x1080, s48                                  // 000000006B2C: 807C30FF 00001080
	buffer_load_dwordx4 v44, s[20:23], 0 offen lds             // 000000006B34: E05D1000 8005002C
	s_add_u32 m0, 0, s50                                       // 000000006B3C: 807C3280
	buffer_load_dwordx4 v45, s[20:23], 0 offen lds             // 000000006B40: E05D1000 8005002D
	s_add_u32 m0, 0x1080, s50                                  // 000000006B48: 807C32FF 00001080
	buffer_load_dwordx4 v46, s[20:23], 0 offen lds             // 000000006B50: E05D1000 8005002E
	s_add_u32 m0, 0x1080, s48                                  // 000000006B58: 807C30FF 00001080
	s_add_u32 m0, m0, s72                                      // 000000006B60: 807C487C
	buffer_load_dword v9, s[28:31], 0 offen lds                // 000000006B64: E0511000 80070009
	s_add_u32 m0, m0, 0x4a00                                   // 000000006B6C: 807CFF7C 00004A00
	buffer_load_dword v11, s[28:31], 0 offen lds               // 000000006B74: E0511000 8007000B
	s_add_u32 m0, 0, s49                                       // 000000006B7C: 807C3180
	buffer_load_dword v38, v19, s[32:35], 0 offen              // 000000006B80: E0501000 80082613
	buffer_load_dwordx4 a[32:35], v47, s[96:99], 0 offen       // 000000006B88: E05C1000 8098202F
	buffer_load_dwordx4 a[36:39], v47, s[96:99], 0 offen offset:1024// 000000006B90: E05C1400 8098242F
	v_mfma_f32_16x16x128_f8f6f4 v[132:135], a[0:7], a[144:151], 0// 000000006B98: D3AD0084 1A032100
	v_mfma_f32_16x16x128_f8f6f4 v[136:139], a[0:7], a[160:167], 0// 000000006BA0: D3AD0088 1A034100
	buffer_load_dwordx4 a[40:43], v48, s[96:99], 0 offen       // 000000006BA8: E05C1000 80982830
	buffer_load_dwordx4 a[44:47], v48, s[96:99], 0 offen offset:1024// 000000006BB0: E05C1400 80982C30
	v_mfma_f32_16x16x128_f8f6f4 v[140:143], a[0:7], a[176:183], 0// 000000006BB8: D3AD008C 1A036100
	s_waitcnt vmcnt(15)                                        // 000000006BC0: BF8C0F7F
	v_mfma_f32_16x16x128_f8f6f4 v[144:147], a[8:15], a[128:135], 0// 000000006BC4: D3AD0090 1A030108
	buffer_load_dwordx4 a[48:51], v47, s[96:99], 0 offen offset:2048// 000000006BCC: E05C1800 8098302F
	buffer_load_dwordx4 a[52:55], v47, s[96:99], 0 offen offset:3072// 000000006BD4: E05C1C00 8098342F
	v_mfma_f32_16x16x128_f8f6f4 v[148:151], a[8:15], a[144:151], 0// 000000006BDC: D3AD0094 1A032108
	v_mfma_f32_16x16x128_f8f6f4 v[152:155], a[8:15], a[160:167], 0// 000000006BE4: D3AD0098 1A034108
	buffer_load_dwordx4 a[56:59], v48, s[96:99], 0 offen offset:2048// 000000006BEC: E05C1800 80983830
	buffer_load_dwordx4 a[60:63], v48, s[96:99], 0 offen offset:3072// 000000006BF4: E05C1C00 80983C30
	v_mfma_f32_16x16x128_f8f6f4 v[156:159], a[8:15], a[176:183], 0// 000000006BFC: D3AD009C 1A036108
	v_mul_f32_dpp v58, v37, v29 row_newbcast:0 row_mask:0xf bank_mask:0xf// 000000006C04: 0A743AFA FF015025
	v_mov_b32_e32 v59, v58                                     // 000000006C0C: 7E76033A
	v_pk_fma_f32 v[64:65], v[128:129], v[58:59], v[64:65]      // 000000006C10: D3B04040 1D027580
	v_pk_fma_f32 v[66:67], v[130:131], v[58:59], v[66:67]      // 000000006C18: D3B04042 1D0A7582
	v_pk_fma_f32 v[80:81], v[144:145], v[58:59], v[80:81]      // 000000006C20: D3B04050 1D427590
	v_pk_fma_f32 v[82:83], v[146:147], v[58:59], v[82:83]      // 000000006C28: D3B04052 1D4A7592
	v_mul_f32_dpp v58, v37, v30 row_newbcast:0 row_mask:0xf bank_mask:0xf// 000000006C30: 0A743CFA FF015025
	v_mov_b32_e32 v59, v58                                     // 000000006C38: 7E76033A
	v_pk_fma_f32 v[68:69], v[132:133], v[58:59], v[68:69]      // 000000006C3C: D3B04044 1D127584
	v_pk_fma_f32 v[70:71], v[134:135], v[58:59], v[70:71]      // 000000006C44: D3B04046 1D1A7586
	v_pk_fma_f32 v[84:85], v[148:149], v[58:59], v[84:85]      // 000000006C4C: D3B04054 1D527594
	v_pk_fma_f32 v[86:87], v[150:151], v[58:59], v[86:87]      // 000000006C54: D3B04056 1D5A7596
	v_mul_f32_dpp v58, v37, v31 row_newbcast:0 row_mask:0xf bank_mask:0xf// 000000006C5C: 0A743EFA FF015025
	v_mov_b32_e32 v59, v58                                     // 000000006C64: 7E76033A
	v_pk_fma_f32 v[72:73], v[136:137], v[58:59], v[72:73]      // 000000006C68: D3B04048 1D227588
	v_pk_fma_f32 v[74:75], v[138:139], v[58:59], v[74:75]      // 000000006C70: D3B0404A 1D2A758A
	v_pk_fma_f32 v[88:89], v[152:153], v[58:59], v[88:89]      // 000000006C78: D3B04058 1D627598
	v_pk_fma_f32 v[90:91], v[154:155], v[58:59], v[90:91]      // 000000006C80: D3B0405A 1D6A759A
	v_mul_f32_dpp v58, v37, v32 row_newbcast:0 row_mask:0xf bank_mask:0xf// 000000006C88: 0A7440FA FF015025
	v_mov_b32_e32 v59, v58                                     // 000000006C90: 7E76033A
	v_pk_fma_f32 v[76:77], v[140:141], v[58:59], v[76:77]      // 000000006C94: D3B0404C 1D32758C
	v_pk_fma_f32 v[78:79], v[142:143], v[58:59], v[78:79]      // 000000006C9C: D3B0404E 1D3A758E
	v_pk_fma_f32 v[92:93], v[156:157], v[58:59], v[92:93]      // 000000006CA4: D3B0405C 1D72759C
	v_pk_fma_f32 v[94:95], v[158:159], v[58:59], v[94:95]      // 000000006CAC: D3B0405E 1D7A759E
	s_waitcnt vmcnt(17)                                        // 000000006CB4: BF8C4F71
	v_mfma_f32_16x16x128_f8f6f4 v[128:131], a[16:23], a[136:143], 0// 000000006CB8: D3AD0080 1A031110
	v_mfma_f32_16x16x128_f8f6f4 v[132:135], a[16:23], a[152:159], 0// 000000006CC0: D3AD0084 1A033110
	v_mfma_f32_16x16x128_f8f6f4 v[136:139], a[16:23], a[168:175], 0// 000000006CC8: D3AD0088 1A035110
	v_mfma_f32_16x16x128_f8f6f4 v[140:143], a[16:23], a[184:191], 0// 000000006CD0: D3AD008C 1A037110
	s_waitcnt vmcnt(15)                                        // 000000006CD8: BF8C0F7F
	v_mfma_f32_16x16x128_f8f6f4 v[144:147], a[24:31], a[136:143], 0// 000000006CDC: D3AD0090 1A031118
	v_mfma_f32_16x16x128_f8f6f4 v[148:151], a[24:31], a[152:159], 0// 000000006CE4: D3AD0094 1A033118
	v_mfma_f32_16x16x128_f8f6f4 v[152:155], a[24:31], a[168:175], 0// 000000006CEC: D3AD0098 1A035118
	v_mfma_f32_16x16x128_f8f6f4 v[156:159], a[24:31], a[184:191], 0// 000000006CF4: D3AD009C 1A037118
	v_mul_f32_dpp v58, v37, v33 row_newbcast:2 row_mask:0xf bank_mask:0xf// 000000006CFC: 0A7442FA FF015225
	v_mov_b32_e32 v59, v58                                     // 000000006D04: 7E76033A
	v_pk_fma_f32 v[64:65], v[128:129], v[58:59], v[64:65]      // 000000006D08: D3B04040 1D027580
	v_pk_fma_f32 v[66:67], v[130:131], v[58:59], v[66:67]      // 000000006D10: D3B04042 1D0A7582
	v_pk_fma_f32 v[80:81], v[144:145], v[58:59], v[80:81]      // 000000006D18: D3B04050 1D427590
	v_pk_fma_f32 v[82:83], v[146:147], v[58:59], v[82:83]      // 000000006D20: D3B04052 1D4A7592
	v_mul_f32_dpp v58, v37, v34 row_newbcast:2 row_mask:0xf bank_mask:0xf// 000000006D28: 0A7444FA FF015225
	v_mov_b32_e32 v59, v58                                     // 000000006D30: 7E76033A
	v_pk_fma_f32 v[68:69], v[132:133], v[58:59], v[68:69]      // 000000006D34: D3B04044 1D127584
	v_pk_fma_f32 v[70:71], v[134:135], v[58:59], v[70:71]      // 000000006D3C: D3B04046 1D1A7586
	v_pk_fma_f32 v[84:85], v[148:149], v[58:59], v[84:85]      // 000000006D44: D3B04054 1D527594
	v_pk_fma_f32 v[86:87], v[150:151], v[58:59], v[86:87]      // 000000006D4C: D3B04056 1D5A7596
	v_mul_f32_dpp v58, v37, v35 row_newbcast:2 row_mask:0xf bank_mask:0xf// 000000006D54: 0A7446FA FF015225
	v_mov_b32_e32 v59, v58                                     // 000000006D5C: 7E76033A
	v_pk_fma_f32 v[72:73], v[136:137], v[58:59], v[72:73]      // 000000006D60: D3B04048 1D227588
	v_pk_fma_f32 v[74:75], v[138:139], v[58:59], v[74:75]      // 000000006D68: D3B0404A 1D2A758A
	v_pk_fma_f32 v[88:89], v[152:153], v[58:59], v[88:89]      // 000000006D70: D3B04058 1D627598
	v_pk_fma_f32 v[90:91], v[154:155], v[58:59], v[90:91]      // 000000006D78: D3B0405A 1D6A759A
	v_mul_f32_dpp v58, v37, v36 row_newbcast:2 row_mask:0xf bank_mask:0xf// 000000006D80: 0A7448FA FF015225
	v_mov_b32_e32 v59, v58                                     // 000000006D88: 7E76033A
	v_pk_fma_f32 v[76:77], v[140:141], v[58:59], v[76:77]      // 000000006D8C: D3B0404C 1D32758C
	v_pk_fma_f32 v[78:79], v[142:143], v[58:59], v[78:79]      // 000000006D94: D3B0404E 1D3A758E
	v_pk_fma_f32 v[92:93], v[156:157], v[58:59], v[92:93]      // 000000006D9C: D3B0405C 1D72759C
	v_pk_fma_f32 v[94:95], v[158:159], v[58:59], v[94:95]      // 000000006DA4: D3B0405E 1D7A759E
	s_add_u32 s56, 0x100, s76                                  // 000000006DAC: 80384CFF 00000100
	s_cmp_lt_u32 s56, s77                                      // 000000006DB4: BF0A4D38
	s_cselect_b32 s4, s4, 0                                    // 000000006DB8: 85048004
	s_add_u32 s32, s4, s32                                     // 000000006DBC: 80202004
	s_addc_u32 s33, 0, s33                                     // 000000006DC0: 82212180
	s_waitcnt vmcnt(6)                                         // 000000006DC4: BF8C0F76
	s_barrier                                                  // 000000006DC8: BF8A0000
	v_mfma_f32_16x16x128_f8f6f4 v[128:131], a[32:39], a[128:135], 0// 000000006DCC: D3AD0080 1A030120
	buffer_load_dword v37, v17, s[32:35], 0 offen              // 000000006DD4: E0501000 80082511
	buffer_load_dwordx4 a[0:3], v47, s[24:27], 0 offen         // 000000006DDC: E05C1000 8086002F
	buffer_load_dwordx4 a[4:7], v47, s[24:27], 0 offen offset:1024// 000000006DE4: E05C1400 8086042F
	v_mfma_f32_16x16x128_f8f6f4 v[132:135], a[32:39], a[144:151], 0// 000000006DEC: D3AD0084 1A032120
	v_mfma_f32_16x16x128_f8f6f4 v[136:139], a[32:39], a[160:167], 0// 000000006DF4: D3AD0088 1A034120
	buffer_load_dwordx4 a[8:11], v48, s[24:27], 0 offen        // 000000006DFC: E05C1000 80860830
	buffer_load_dwordx4 a[12:15], v48, s[24:27], 0 offen offset:1024// 000000006E04: E05C1400 80860C30
	v_mfma_f32_16x16x128_f8f6f4 v[140:143], a[32:39], a[176:183], 0// 000000006E0C: D3AD008C 1A036120
	s_waitcnt vmcnt(9)                                         // 000000006E14: BF8C0F79
	v_mfma_f32_16x16x128_f8f6f4 v[144:147], a[40:47], a[128:135], 0// 000000006E18: D3AD0090 1A030128
	buffer_load_dwordx4 a[16:19], v47, s[24:27], 0 offen offset:2048// 000000006E20: E05C1800 8086102F
	buffer_load_dwordx4 a[20:23], v47, s[24:27], 0 offen offset:3072// 000000006E28: E05C1C00 8086142F
	v_mfma_f32_16x16x128_f8f6f4 v[148:151], a[40:47], a[144:151], 0// 000000006E30: D3AD0094 1A032128
	v_mfma_f32_16x16x128_f8f6f4 v[152:155], a[40:47], a[160:167], 0// 000000006E38: D3AD0098 1A034128
	buffer_load_dwordx4 a[24:27], v48, s[24:27], 0 offen offset:2048// 000000006E40: E05C1800 80861830
	buffer_load_dwordx4 a[28:31], v48, s[24:27], 0 offen offset:3072// 000000006E48: E05C1C00 80861C30
	v_mfma_f32_16x16x128_f8f6f4 v[156:159], a[40:47], a[176:183], 0// 000000006E50: D3AD009C 1A036128
	v_mul_f32_dpp v58, v38, v29 row_newbcast:0 row_mask:0xf bank_mask:0xf// 000000006E58: 0A743AFA FF015026
	v_mov_b32_e32 v59, v58                                     // 000000006E60: 7E76033A
	v_pk_fma_f32 v[96:97], v[128:129], v[58:59], v[96:97]      // 000000006E64: D3B04060 1D827580
	v_pk_fma_f32 v[98:99], v[130:131], v[58:59], v[98:99]      // 000000006E6C: D3B04062 1D8A7582
	v_pk_fma_f32 v[112:113], v[144:145], v[58:59], v[112:113]  // 000000006E74: D3B04070 1DC27590
	v_pk_fma_f32 v[114:115], v[146:147], v[58:59], v[114:115]  // 000000006E7C: D3B04072 1DCA7592
	v_mul_f32_dpp v58, v38, v30 row_newbcast:0 row_mask:0xf bank_mask:0xf// 000000006E84: 0A743CFA FF015026
	v_mov_b32_e32 v59, v58                                     // 000000006E8C: 7E76033A
	v_pk_fma_f32 v[100:101], v[132:133], v[58:59], v[100:101]  // 000000006E90: D3B04064 1D927584
	v_pk_fma_f32 v[102:103], v[134:135], v[58:59], v[102:103]  // 000000006E98: D3B04066 1D9A7586
	v_pk_fma_f32 v[116:117], v[148:149], v[58:59], v[116:117]  // 000000006EA0: D3B04074 1DD27594
	v_pk_fma_f32 v[118:119], v[150:151], v[58:59], v[118:119]  // 000000006EA8: D3B04076 1DDA7596
	v_mul_f32_dpp v58, v38, v31 row_newbcast:0 row_mask:0xf bank_mask:0xf// 000000006EB0: 0A743EFA FF015026
	v_mov_b32_e32 v59, v58                                     // 000000006EB8: 7E76033A
	v_pk_fma_f32 v[104:105], v[136:137], v[58:59], v[104:105]  // 000000006EBC: D3B04068 1DA27588
	v_pk_fma_f32 v[106:107], v[138:139], v[58:59], v[106:107]  // 000000006EC4: D3B0406A 1DAA758A
	v_pk_fma_f32 v[120:121], v[152:153], v[58:59], v[120:121]  // 000000006ECC: D3B04078 1DE27598
	v_pk_fma_f32 v[122:123], v[154:155], v[58:59], v[122:123]  // 000000006ED4: D3B0407A 1DEA759A
	v_mul_f32_dpp v58, v38, v32 row_newbcast:0 row_mask:0xf bank_mask:0xf// 000000006EDC: 0A7440FA FF015026
	v_mov_b32_e32 v59, v58                                     // 000000006EE4: 7E76033A
	v_pk_fma_f32 v[108:109], v[140:141], v[58:59], v[108:109]  // 000000006EE8: D3B0406C 1DB2758C
	v_pk_fma_f32 v[110:111], v[142:143], v[58:59], v[110:111]  // 000000006EF0: D3B0406E 1DBA758E
	v_pk_fma_f32 v[124:125], v[156:157], v[58:59], v[124:125]  // 000000006EF8: D3B0407C 1DF2759C
	v_pk_fma_f32 v[126:127], v[158:159], v[58:59], v[126:127]  // 000000006F00: D3B0407E 1DFA759E
	s_waitcnt vmcnt(11)                                        // 000000006F08: BF8C0F7B
	v_mfma_f32_16x16x128_f8f6f4 v[128:131], a[48:55], a[136:143], 0// 000000006F0C: D3AD0080 1A031130
	v_mfma_f32_16x16x128_f8f6f4 v[132:135], a[48:55], a[152:159], 0// 000000006F14: D3AD0084 1A033130
	ds_read_b128 a[64:67], v2                                  // 000000006F1C: DBFE0000 40000002
	ds_read_b128 a[68:71], v2 offset:64                        // 000000006F24: DBFE0040 44000002
	ds_read_b128 a[72:75], v2 offset:4224                      // 000000006F2C: DBFE1080 48000002
	ds_read_b128 a[76:79], v2 offset:4288                      // 000000006F34: DBFE10C0 4C000002
	ds_read_b32 v21, v3 offset:8448                            // 000000006F3C: D86C2100 15000003
	ds_read_b32 v22, v3 offset:8704                            // 000000006F44: D86C2200 16000003
	v_mfma_f32_16x16x128_f8f6f4 v[136:139], a[48:55], a[168:175], 0// 000000006F4C: D3AD0088 1A035130
	v_mfma_f32_16x16x128_f8f6f4 v[140:143], a[48:55], a[184:191], 0// 000000006F54: D3AD008C 1A037130
	ds_read_b128 a[80:83], v2 offset:512                       // 000000006F5C: DBFE0200 50000002
	ds_read_b128 a[84:87], v2 offset:576                       // 000000006F64: DBFE0240 54000002
	ds_read_b128 a[88:91], v2 offset:4736                      // 000000006F6C: DBFE1280 58000002
	ds_read_b128 a[92:95], v2 offset:4800                      // 000000006F74: DBFE12C0 5C000002
	ds_read_b32 v23, v3 offset:27392                           // 000000006F7C: D86C6B00 17000003
	ds_read_b32 v24, v3 offset:27648                           // 000000006F84: D86C6C00 18000003
	s_waitcnt vmcnt(9)                                         // 000000006F8C: BF8C0F79
	v_mfma_f32_16x16x128_f8f6f4 v[144:147], a[56:63], a[136:143], 0// 000000006F90: D3AD0090 1A031138
	v_mfma_f32_16x16x128_f8f6f4 v[148:151], a[56:63], a[152:159], 0// 000000006F98: D3AD0094 1A033138
	ds_read_b128 a[96:99], v2 offset:18944                     // 000000006FA0: DBFE4A00 60000002
	ds_read_b128 a[100:103], v2 offset:19008                   // 000000006FA8: DBFE4A40 64000002
	ds_read_b128 a[104:107], v2 offset:23168                   // 000000006FB0: DBFE5A80 68000002
	ds_read_b128 a[108:111], v2 offset:23232                   // 000000006FB8: DBFE5AC0 6C000002
	ds_read_b32 v25, v3 offset:8960                            // 000000006FC0: D86C2300 19000003
	ds_read_b32 v26, v3 offset:9216                            // 000000006FC8: D86C2400 1A000003
	v_mfma_f32_16x16x128_f8f6f4 v[152:155], a[56:63], a[168:175], 0// 000000006FD0: D3AD0098 1A035138
	v_mfma_f32_16x16x128_f8f6f4 v[156:159], a[56:63], a[184:191], 0// 000000006FD8: D3AD009C 1A037138
	ds_read_b128 a[112:115], v2 offset:19456                   // 000000006FE0: DBFE4C00 70000002
	ds_read_b128 a[116:119], v2 offset:19520                   // 000000006FE8: DBFE4C40 74000002
	ds_read_b128 a[120:123], v2 offset:23680                   // 000000006FF0: DBFE5C80 78000002
	ds_read_b128 a[124:127], v2 offset:23744                   // 000000006FF8: DBFE5CC0 7C000002
	ds_read_b32 v27, v3 offset:27904                           // 000000007000: D86C6D00 1B000003
	ds_read_b32 v28, v3 offset:28160                           // 000000007008: D86C6E00 1C000003
	v_mul_f32_dpp v58, v38, v33 row_newbcast:2 row_mask:0xf bank_mask:0xf// 000000007010: 0A7442FA FF015226
	v_mov_b32_e32 v59, v58                                     // 000000007018: 7E76033A
	v_pk_fma_f32 v[96:97], v[128:129], v[58:59], v[96:97]      // 00000000701C: D3B04060 1D827580
	v_pk_fma_f32 v[98:99], v[130:131], v[58:59], v[98:99]      // 000000007024: D3B04062 1D8A7582
	v_pk_fma_f32 v[112:113], v[144:145], v[58:59], v[112:113]  // 00000000702C: D3B04070 1DC27590
	v_pk_fma_f32 v[114:115], v[146:147], v[58:59], v[114:115]  // 000000007034: D3B04072 1DCA7592
	v_mul_f32_dpp v58, v38, v34 row_newbcast:2 row_mask:0xf bank_mask:0xf// 00000000703C: 0A7444FA FF015226
	v_mov_b32_e32 v59, v58                                     // 000000007044: 7E76033A
	v_pk_fma_f32 v[100:101], v[132:133], v[58:59], v[100:101]  // 000000007048: D3B04064 1D927584
	v_pk_fma_f32 v[102:103], v[134:135], v[58:59], v[102:103]  // 000000007050: D3B04066 1D9A7586
	v_pk_fma_f32 v[116:117], v[148:149], v[58:59], v[116:117]  // 000000007058: D3B04074 1DD27594
	v_pk_fma_f32 v[118:119], v[150:151], v[58:59], v[118:119]  // 000000007060: D3B04076 1DDA7596
	v_mul_f32_dpp v58, v38, v35 row_newbcast:2 row_mask:0xf bank_mask:0xf// 000000007068: 0A7446FA FF015226
	v_mov_b32_e32 v59, v58                                     // 000000007070: 7E76033A
	v_pk_fma_f32 v[104:105], v[136:137], v[58:59], v[104:105]  // 000000007074: D3B04068 1DA27588
	v_pk_fma_f32 v[106:107], v[138:139], v[58:59], v[106:107]  // 00000000707C: D3B0406A 1DAA758A
	v_pk_fma_f32 v[120:121], v[152:153], v[58:59], v[120:121]  // 000000007084: D3B04078 1DE27598
	v_pk_fma_f32 v[122:123], v[154:155], v[58:59], v[122:123]  // 00000000708C: D3B0407A 1DEA759A
	v_mul_f32_dpp v58, v38, v36 row_newbcast:2 row_mask:0xf bank_mask:0xf// 000000007094: 0A7448FA FF015226
	v_mov_b32_e32 v59, v58                                     // 00000000709C: 7E76033A
	v_pk_fma_f32 v[108:109], v[140:141], v[58:59], v[108:109]  // 0000000070A0: D3B0406C 1DB2758C
	v_pk_fma_f32 v[110:111], v[142:143], v[58:59], v[110:111]  // 0000000070A8: D3B0406E 1DBA758E
	v_pk_fma_f32 v[124:125], v[156:157], v[58:59], v[124:125]  // 0000000070B0: D3B0407C 1DF2759C
	v_pk_fma_f32 v[126:127], v[158:159], v[58:59], v[126:127]  // 0000000070B8: D3B0407E 1DFA759E
	s_add_u32 s56, 0x200, s76                                  // 0000000070C0: 80384CFF 00000200
	s_cmp_lt_u32 s56, s77                                      // 0000000070C8: BF0A4D38
	s_cselect_b32 s53, s53, 0                                  // 0000000070CC: 85358035
	s_cselect_b32 s3, s3, 0                                    // 0000000070D0: 85038003
	s_add_u32 s56, 0x200, s76                                  // 0000000070D4: 80384CFF 00000200
	s_cmp_lt_u32 s56, s77                                      // 0000000070DC: BF0A4D38
	s_cselect_b32 s54, s54, 0                                  // 0000000070E0: 85368036
	s_add_u32 s20, s53, s20                                    // 0000000070E4: 80141435
	s_addc_u32 s21, 0, s21                                     // 0000000070E8: 82151580
	s_add_u32 s28, s3, s28                                     // 0000000070EC: 801C1C03
	s_addc_u32 s29, 0, s29                                     // 0000000070F0: 821D1D80
	s_add_u32 s24, s54, s24                                    // 0000000070F4: 80181836
	s_addc_u32 s25, 0, s25                                     // 0000000070F8: 82191980
	s_add_u32 s96, s94, s96                                    // 0000000070FC: 8060605E
	s_addc_u32 s97, 0, s97                                     // 000000007100: 82616180
	s_addk_i32 s76, 0x100                                      // 000000007104: B74C0100
	s_cmp_lt_i32 s76, s77                                      // 000000007108: BF044D4C
	s_cbranch_scc0 label_10C5                                  // 00000000710C: BF840001
	s_branch label_0DC6                                        // 000000007110: BF82FD01

0000000000007114 <label_10C5>:
	s_mov_b32 s20, 0                                           // 000000007114: BE940080
	s_cmp_lt_u32 s93, s62                                      // 000000007118: BF0A3E5D
	s_cselect_b32 s56, 0, 1                                    // 00000000711C: 85388180
	s_lshl1_add_u32 s20, s20, s56                              // 000000007120: 97143814
	s_cmp_lt_u32 s92, s62                                      // 000000007124: BF0A3E5C
	s_cselect_b32 s56, 0, 1                                    // 000000007128: 85388180
	s_lshl1_add_u32 s20, s20, s56                              // 00000000712C: 97143814
	s_cmp_lt_u32 s91, s62                                      // 000000007130: BF0A3E5B
	s_cselect_b32 s56, 0, 1                                    // 000000007134: 85388180
	s_lshl1_add_u32 s20, s20, s56                              // 000000007138: 97143814
	s_cmp_lt_u32 s90, s62                                      // 00000000713C: BF0A3E5A
	s_cselect_b32 s56, 0, 1                                    // 000000007140: 85388180
	s_lshl1_add_u32 s20, s20, s56                              // 000000007144: 97143814
	s_cmp_lt_u32 s89, s62                                      // 000000007148: BF0A3E59
	s_cselect_b32 s56, 0, 1                                    // 00000000714C: 85388180
	s_lshl1_add_u32 s20, s20, s56                              // 000000007150: 97143814
	s_cmp_lt_u32 s88, s62                                      // 000000007154: BF0A3E58
	s_cselect_b32 s56, 0, 1                                    // 000000007158: 85388180
	s_lshl1_add_u32 s20, s20, s56                              // 00000000715C: 97143814
	s_cmp_lt_u32 s87, s62                                      // 000000007160: BF0A3E57
	s_cselect_b32 s56, 0, 1                                    // 000000007164: 85388180
	s_lshl1_add_u32 s20, s20, s56                              // 000000007168: 97143814
	s_cmp_lt_u32 s86, s62                                      // 00000000716C: BF0A3E56
	s_cselect_b32 s56, 0, 1                                    // 000000007170: 85388180
	s_lshl1_add_u32 s20, s20, s56                              // 000000007174: 97143814
	s_cmp_lt_u32 s85, s62                                      // 000000007178: BF0A3E55
	s_cselect_b32 s56, 0, 1                                    // 00000000717C: 85388180
	s_lshl1_add_u32 s20, s20, s56                              // 000000007180: 97143814
	s_cmp_lt_u32 s84, s62                                      // 000000007184: BF0A3E54
	s_cselect_b32 s56, 0, 1                                    // 000000007188: 85388180
	s_lshl1_add_u32 s20, s20, s56                              // 00000000718C: 97143814
	s_cmp_lt_u32 s83, s62                                      // 000000007190: BF0A3E53
	s_cselect_b32 s56, 0, 1                                    // 000000007194: 85388180
	s_lshl1_add_u32 s20, s20, s56                              // 000000007198: 97143814
	s_cmp_lt_u32 s82, s62                                      // 00000000719C: BF0A3E52
	s_cselect_b32 s56, 0, 1                                    // 0000000071A0: 85388180
	s_lshl1_add_u32 s20, s20, s56                              // 0000000071A4: 97143814
	s_cmp_lt_u32 s81, s62                                      // 0000000071A8: BF0A3E51
	s_cselect_b32 s56, 0, 1                                    // 0000000071AC: 85388180
	s_lshl1_add_u32 s20, s20, s56                              // 0000000071B0: 97143814
	s_cmp_lt_u32 s80, s62                                      // 0000000071B4: BF0A3E50
	s_cselect_b32 s56, 0, 1                                    // 0000000071B8: 85388180
	s_lshl1_add_u32 s20, s20, s56                              // 0000000071BC: 97143814
	s_cmp_lt_u32 s79, s62                                      // 0000000071C0: BF0A3E4F
	s_cselect_b32 s56, 0, 1                                    // 0000000071C4: 85388180
	s_lshl1_add_u32 s20, s20, s56                              // 0000000071C8: 97143814
	s_cmp_lt_u32 s78, s62                                      // 0000000071CC: BF0A3E4E
	s_cselect_b32 s56, 0, 1                                    // 0000000071D0: 85388180
	s_lshl1_add_u32 s20, s20, s56                              // 0000000071D4: 97143814
	s_waitcnt vmcnt(4)                                         // 0000000071D8: BF8C0F74
	buffer_load_dwordx4 a[0:3], v49, s[12:15], 0 offen         // 0000000071DC: E05C1000 80830031
	v_mul_f32_e64 v58, -v64, s6                                // 0000000071E4: D105003A 20000D40
	v_mul_f32_e64 v59, -v65, s6                                // 0000000071EC: D105003B 20000D41
	v_mul_f32_e64 v60, -v66, s6                                // 0000000071F4: D105003C 20000D42
	v_mul_f32_e64 v61, -v67, s6                                // 0000000071FC: D105003D 20000D43
	v_exp_f32_e32 v58, v58                                     // 000000007204: 7E74413A
	v_exp_f32_e32 v59, v59                                     // 000000007208: 7E76413B
	v_exp_f32_e32 v60, v60                                     // 00000000720C: 7E78413C
	v_exp_f32_e32 v61, v61                                     // 000000007210: 7E7A413D
	buffer_load_dwordx4 a[4:7], v49, s[12:15], 0 offen offset:1024// 000000007214: E05C1400 80830431
	v_add_f32_e64 v58, v58, 1.0                                // 00000000721C: D101003A 0001E53A
	v_add_f32_e64 v59, v59, 1.0                                // 000000007224: D101003B 0001E53B
	v_add_f32_e64 v60, v60, 1.0                                // 00000000722C: D101003C 0001E53C
	v_add_f32_e64 v61, v61, 1.0                                // 000000007234: D101003D 0001E53D
	v_rcp_f32_e32 v58, v58                                     // 00000000723C: 7E74453A
	v_rcp_f32_e32 v59, v59                                     // 000000007240: 7E76453B
	v_rcp_f32_e32 v60, v60                                     // 000000007244: 7E78453C
	v_rcp_f32_e32 v61, v61                                     // 000000007248: 7E7A453D
	v_mul_f32_e32 v64, v64, v58                                // 00000000724C: 0A807540
	v_mul_f32_e32 v65, v65, v59                                // 000000007250: 0A827741
	v_mul_f32_e32 v66, v66, v60                                // 000000007254: 0A847942
	v_mul_f32_e32 v67, v67, v61                                // 000000007258: 0A867B43
	v_mul_f32_e32 v64, v64, v96                                // 00000000725C: 0A80C140
	v_mul_f32_e32 v65, v65, v97                                // 000000007260: 0A82C341
	v_mul_f32_e32 v66, v66, v98                                // 000000007264: 0A84C542
	v_mul_f32_e32 v67, v67, v99                                // 000000007268: 0A86C743
	buffer_load_dwordx4 a[8:11], v50, s[12:15], 0 offen        // 00000000726C: E05C1000 80830832
	v_mul_f32_e64 v58, -v68, s6                                // 000000007274: D105003A 20000D44
	v_mul_f32_e64 v59, -v69, s6                                // 00000000727C: D105003B 20000D45
	v_mul_f32_e64 v60, -v70, s6                                // 000000007284: D105003C 20000D46
	v_mul_f32_e64 v61, -v71, s6                                // 00000000728C: D105003D 20000D47
	v_exp_f32_e32 v58, v58                                     // 000000007294: 7E74413A
	v_exp_f32_e32 v59, v59                                     // 000000007298: 7E76413B
	v_exp_f32_e32 v60, v60                                     // 00000000729C: 7E78413C
	v_exp_f32_e32 v61, v61                                     // 0000000072A0: 7E7A413D
	buffer_load_dwordx4 a[12:15], v50, s[12:15], 0 offen offset:1024// 0000000072A4: E05C1400 80830C32
	v_add_f32_e64 v58, v58, 1.0                                // 0000000072AC: D101003A 0001E53A
	v_add_f32_e64 v59, v59, 1.0                                // 0000000072B4: D101003B 0001E53B
	v_add_f32_e64 v60, v60, 1.0                                // 0000000072BC: D101003C 0001E53C
	v_add_f32_e64 v61, v61, 1.0                                // 0000000072C4: D101003D 0001E53D
	v_rcp_f32_e32 v58, v58                                     // 0000000072CC: 7E74453A
	v_rcp_f32_e32 v59, v59                                     // 0000000072D0: 7E76453B
	v_rcp_f32_e32 v60, v60                                     // 0000000072D4: 7E78453C
	v_rcp_f32_e32 v61, v61                                     // 0000000072D8: 7E7A453D
	v_mul_f32_e32 v68, v68, v58                                // 0000000072DC: 0A887544
	v_mul_f32_e32 v69, v69, v59                                // 0000000072E0: 0A8A7745
	v_mul_f32_e32 v70, v70, v60                                // 0000000072E4: 0A8C7946
	v_mul_f32_e32 v71, v71, v61                                // 0000000072E8: 0A8E7B47
	v_mul_f32_e32 v68, v68, v100                               // 0000000072EC: 0A88C944
	v_mul_f32_e32 v69, v69, v101                               // 0000000072F0: 0A8ACB45
	v_mul_f32_e32 v70, v70, v102                               // 0000000072F4: 0A8CCD46
	v_mul_f32_e32 v71, v71, v103                               // 0000000072F8: 0A8ECF47
	s_waitcnt vmcnt(4)                                         // 0000000072FC: BF8C0F74
	buffer_load_dwordx4 a[16:19], v51, s[12:15], 0 offen       // 000000007300: E05C1000 80831033
	v_mul_f32_e64 v58, -v72, s6                                // 000000007308: D105003A 20000D48
	v_mul_f32_e64 v59, -v73, s6                                // 000000007310: D105003B 20000D49
	v_mul_f32_e64 v60, -v74, s6                                // 000000007318: D105003C 20000D4A
	v_mul_f32_e64 v61, -v75, s6                                // 000000007320: D105003D 20000D4B
	v_exp_f32_e32 v58, v58                                     // 000000007328: 7E74413A
	v_exp_f32_e32 v59, v59                                     // 00000000732C: 7E76413B
	v_exp_f32_e32 v60, v60                                     // 000000007330: 7E78413C
	v_exp_f32_e32 v61, v61                                     // 000000007334: 7E7A413D
	buffer_load_dwordx4 a[20:23], v51, s[12:15], 0 offen offset:1024// 000000007338: E05C1400 80831433
	v_add_f32_e64 v58, v58, 1.0                                // 000000007340: D101003A 0001E53A
	v_add_f32_e64 v59, v59, 1.0                                // 000000007348: D101003B 0001E53B
	v_add_f32_e64 v60, v60, 1.0                                // 000000007350: D101003C 0001E53C
	v_add_f32_e64 v61, v61, 1.0                                // 000000007358: D101003D 0001E53D
	v_rcp_f32_e32 v58, v58                                     // 000000007360: 7E74453A
	v_rcp_f32_e32 v59, v59                                     // 000000007364: 7E76453B
	v_rcp_f32_e32 v60, v60                                     // 000000007368: 7E78453C
	v_rcp_f32_e32 v61, v61                                     // 00000000736C: 7E7A453D
	v_mul_f32_e32 v72, v72, v58                                // 000000007370: 0A907548
	v_mul_f32_e32 v73, v73, v59                                // 000000007374: 0A927749
	v_mul_f32_e32 v74, v74, v60                                // 000000007378: 0A94794A
	v_mul_f32_e32 v75, v75, v61                                // 00000000737C: 0A967B4B
	v_mul_f32_e32 v72, v72, v104                               // 000000007380: 0A90D148
	v_mul_f32_e32 v73, v73, v105                               // 000000007384: 0A92D349
	v_mul_f32_e32 v74, v74, v106                               // 000000007388: 0A94D54A
	v_mul_f32_e32 v75, v75, v107                               // 00000000738C: 0A96D74B
	buffer_load_dwordx4 a[24:27], v52, s[12:15], 0 offen       // 000000007390: E05C1000 80831834
	v_mul_f32_e64 v58, -v76, s6                                // 000000007398: D105003A 20000D4C
	v_mul_f32_e64 v59, -v77, s6                                // 0000000073A0: D105003B 20000D4D
	v_mul_f32_e64 v60, -v78, s6                                // 0000000073A8: D105003C 20000D4E
	v_mul_f32_e64 v61, -v79, s6                                // 0000000073B0: D105003D 20000D4F
	v_exp_f32_e32 v58, v58                                     // 0000000073B8: 7E74413A
	v_exp_f32_e32 v59, v59                                     // 0000000073BC: 7E76413B
	v_exp_f32_e32 v60, v60                                     // 0000000073C0: 7E78413C
	v_exp_f32_e32 v61, v61                                     // 0000000073C4: 7E7A413D
	buffer_load_dwordx4 a[28:31], v52, s[12:15], 0 offen offset:1024// 0000000073C8: E05C1400 80831C34
	v_add_f32_e64 v58, v58, 1.0                                // 0000000073D0: D101003A 0001E53A
	v_add_f32_e64 v59, v59, 1.0                                // 0000000073D8: D101003B 0001E53B
	v_add_f32_e64 v60, v60, 1.0                                // 0000000073E0: D101003C 0001E53C
	v_add_f32_e64 v61, v61, 1.0                                // 0000000073E8: D101003D 0001E53D
	v_rcp_f32_e32 v58, v58                                     // 0000000073F0: 7E74453A
	v_rcp_f32_e32 v59, v59                                     // 0000000073F4: 7E76453B
	v_rcp_f32_e32 v60, v60                                     // 0000000073F8: 7E78453C
	v_rcp_f32_e32 v61, v61                                     // 0000000073FC: 7E7A453D
	v_mul_f32_e32 v76, v76, v58                                // 000000007400: 0A98754C
	v_mul_f32_e32 v77, v77, v59                                // 000000007404: 0A9A774D
	v_mul_f32_e32 v78, v78, v60                                // 000000007408: 0A9C794E
	v_mul_f32_e32 v79, v79, v61                                // 00000000740C: 0A9E7B4F
	v_mul_f32_e32 v76, v76, v108                               // 000000007410: 0A98D94C
	v_mul_f32_e32 v77, v77, v109                               // 000000007414: 0A9ADB4D
	v_mul_f32_e32 v78, v78, v110                               // 000000007418: 0A9CDD4E
	v_mul_f32_e32 v79, v79, v111                               // 00000000741C: 0A9EDF4F
	s_waitcnt vmcnt(4)                                         // 000000007420: BF8C0F74
	v_mul_f32_e64 v58, -v80, s6                                // 000000007424: D105003A 20000D50
	v_mul_f32_e64 v59, -v81, s6                                // 00000000742C: D105003B 20000D51
	v_mul_f32_e64 v60, -v82, s6                                // 000000007434: D105003C 20000D52
	v_mul_f32_e64 v61, -v83, s6                                // 00000000743C: D105003D 20000D53
	v_exp_f32_e32 v58, v58                                     // 000000007444: 7E74413A
	v_exp_f32_e32 v59, v59                                     // 000000007448: 7E76413B
	v_exp_f32_e32 v60, v60                                     // 00000000744C: 7E78413C
	v_exp_f32_e32 v61, v61                                     // 000000007450: 7E7A413D
	v_add_f32_e64 v58, v58, 1.0                                // 000000007454: D101003A 0001E53A
	v_add_f32_e64 v59, v59, 1.0                                // 00000000745C: D101003B 0001E53B
	v_add_f32_e64 v60, v60, 1.0                                // 000000007464: D101003C 0001E53C
	v_add_f32_e64 v61, v61, 1.0                                // 00000000746C: D101003D 0001E53D
	v_rcp_f32_e32 v58, v58                                     // 000000007474: 7E74453A
	v_rcp_f32_e32 v59, v59                                     // 000000007478: 7E76453B
	v_rcp_f32_e32 v60, v60                                     // 00000000747C: 7E78453C
	v_rcp_f32_e32 v61, v61                                     // 000000007480: 7E7A453D
	v_mul_f32_e32 v80, v80, v58                                // 000000007484: 0AA07550
	v_mul_f32_e32 v81, v81, v59                                // 000000007488: 0AA27751
	v_mul_f32_e32 v82, v82, v60                                // 00000000748C: 0AA47952
	v_mul_f32_e32 v83, v83, v61                                // 000000007490: 0AA67B53
	v_mul_f32_e32 v80, v80, v112                               // 000000007494: 0AA0E150
	v_mul_f32_e32 v81, v81, v113                               // 000000007498: 0AA2E351
	v_mul_f32_e32 v82, v82, v114                               // 00000000749C: 0AA4E552
	v_mul_f32_e32 v83, v83, v115                               // 0000000074A0: 0AA6E753
	v_mul_f32_e64 v58, -v84, s6                                // 0000000074A4: D105003A 20000D54
	v_mul_f32_e64 v59, -v85, s6                                // 0000000074AC: D105003B 20000D55
	v_mul_f32_e64 v60, -v86, s6                                // 0000000074B4: D105003C 20000D56
	v_mul_f32_e64 v61, -v87, s6                                // 0000000074BC: D105003D 20000D57
	v_exp_f32_e32 v58, v58                                     // 0000000074C4: 7E74413A
	v_exp_f32_e32 v59, v59                                     // 0000000074C8: 7E76413B
	v_exp_f32_e32 v60, v60                                     // 0000000074CC: 7E78413C
	v_exp_f32_e32 v61, v61                                     // 0000000074D0: 7E7A413D
	v_add_f32_e64 v58, v58, 1.0                                // 0000000074D4: D101003A 0001E53A
	v_add_f32_e64 v59, v59, 1.0                                // 0000000074DC: D101003B 0001E53B
	v_add_f32_e64 v60, v60, 1.0                                // 0000000074E4: D101003C 0001E53C
	v_add_f32_e64 v61, v61, 1.0                                // 0000000074EC: D101003D 0001E53D
	v_rcp_f32_e32 v58, v58                                     // 0000000074F4: 7E74453A
	v_rcp_f32_e32 v59, v59                                     // 0000000074F8: 7E76453B
	v_rcp_f32_e32 v60, v60                                     // 0000000074FC: 7E78453C
	v_rcp_f32_e32 v61, v61                                     // 000000007500: 7E7A453D
	v_mul_f32_e32 v84, v84, v58                                // 000000007504: 0AA87554
	v_mul_f32_e32 v85, v85, v59                                // 000000007508: 0AAA7755
	v_mul_f32_e32 v86, v86, v60                                // 00000000750C: 0AAC7956
	v_mul_f32_e32 v87, v87, v61                                // 000000007510: 0AAE7B57
	v_mul_f32_e32 v84, v84, v116                               // 000000007514: 0AA8E954
	v_mul_f32_e32 v85, v85, v117                               // 000000007518: 0AAAEB55
	v_mul_f32_e32 v86, v86, v118                               // 00000000751C: 0AACED56
	v_mul_f32_e32 v87, v87, v119                               // 000000007520: 0AAEEF57
	s_waitcnt vmcnt(4)                                         // 000000007524: BF8C0F74
	v_mul_f32_e64 v58, -v88, s6                                // 000000007528: D105003A 20000D58
	v_mul_f32_e64 v59, -v89, s6                                // 000000007530: D105003B 20000D59
	v_mul_f32_e64 v60, -v90, s6                                // 000000007538: D105003C 20000D5A
	v_mul_f32_e64 v61, -v91, s6                                // 000000007540: D105003D 20000D5B
	v_exp_f32_e32 v58, v58                                     // 000000007548: 7E74413A
	v_exp_f32_e32 v59, v59                                     // 00000000754C: 7E76413B
	v_exp_f32_e32 v60, v60                                     // 000000007550: 7E78413C
	v_exp_f32_e32 v61, v61                                     // 000000007554: 7E7A413D
	v_add_f32_e64 v58, v58, 1.0                                // 000000007558: D101003A 0001E53A
	v_add_f32_e64 v59, v59, 1.0                                // 000000007560: D101003B 0001E53B
	v_add_f32_e64 v60, v60, 1.0                                // 000000007568: D101003C 0001E53C
	v_add_f32_e64 v61, v61, 1.0                                // 000000007570: D101003D 0001E53D
	v_rcp_f32_e32 v58, v58                                     // 000000007578: 7E74453A
	v_rcp_f32_e32 v59, v59                                     // 00000000757C: 7E76453B
	v_rcp_f32_e32 v60, v60                                     // 000000007580: 7E78453C
	v_rcp_f32_e32 v61, v61                                     // 000000007584: 7E7A453D
	v_mul_f32_e32 v88, v88, v58                                // 000000007588: 0AB07558
	v_mul_f32_e32 v89, v89, v59                                // 00000000758C: 0AB27759
	v_mul_f32_e32 v90, v90, v60                                // 000000007590: 0AB4795A
	v_mul_f32_e32 v91, v91, v61                                // 000000007594: 0AB67B5B
	v_mul_f32_e32 v88, v88, v120                               // 000000007598: 0AB0F158
	v_mul_f32_e32 v89, v89, v121                               // 00000000759C: 0AB2F359
	v_mul_f32_e32 v90, v90, v122                               // 0000000075A0: 0AB4F55A
	v_mul_f32_e32 v91, v91, v123                               // 0000000075A4: 0AB6F75B
	v_mul_f32_e64 v58, -v92, s6                                // 0000000075A8: D105003A 20000D5C
	v_mul_f32_e64 v59, -v93, s6                                // 0000000075B0: D105003B 20000D5D
	v_mul_f32_e64 v60, -v94, s6                                // 0000000075B8: D105003C 20000D5E
	v_mul_f32_e64 v61, -v95, s6                                // 0000000075C0: D105003D 20000D5F
	v_exp_f32_e32 v58, v58                                     // 0000000075C8: 7E74413A
	v_exp_f32_e32 v59, v59                                     // 0000000075CC: 7E76413B
	v_exp_f32_e32 v60, v60                                     // 0000000075D0: 7E78413C
	v_exp_f32_e32 v61, v61                                     // 0000000075D4: 7E7A413D
	v_add_f32_e64 v58, v58, 1.0                                // 0000000075D8: D101003A 0001E53A
	v_add_f32_e64 v59, v59, 1.0                                // 0000000075E0: D101003B 0001E53B
	v_add_f32_e64 v60, v60, 1.0                                // 0000000075E8: D101003C 0001E53C
	v_add_f32_e64 v61, v61, 1.0                                // 0000000075F0: D101003D 0001E53D
	v_rcp_f32_e32 v58, v58                                     // 0000000075F8: 7E74453A
	v_rcp_f32_e32 v59, v59                                     // 0000000075FC: 7E76453B
	v_rcp_f32_e32 v60, v60                                     // 000000007600: 7E78453C
	v_rcp_f32_e32 v61, v61                                     // 000000007604: 7E7A453D
	v_mul_f32_e32 v92, v92, v58                                // 000000007608: 0AB8755C
	v_mul_f32_e32 v93, v93, v59                                // 00000000760C: 0ABA775D
	v_mul_f32_e32 v94, v94, v60                                // 000000007610: 0ABC795E
	v_mul_f32_e32 v95, v95, v61                                // 000000007614: 0ABE7B5F
	v_mul_f32_e32 v92, v92, v124                               // 000000007618: 0AB8F95C
	v_mul_f32_e32 v93, v93, v125                               // 00000000761C: 0ABAFB5D
	v_mul_f32_e32 v94, v94, v126                               // 000000007620: 0ABCFD5E
	v_mul_f32_e32 v95, v95, v127                               // 000000007624: 0ABEFF5F
	buffer_load_dword v37, v8, s[16:19], 0 offen               // 000000007628: E0501000 80042508
	v_mov_b32_e32 v128, 0x358637bd                             // 000000007630: 7F0002FF 358637BD
	v_mov_b32_e32 v129, 0x358637bd                             // 000000007638: 7F0202FF 358637BD
	v_mov_b32_e32 v130, 0x358637bd                             // 000000007640: 7F0402FF 358637BD
	v_mov_b32_e32 v131, 0x358637bd                             // 000000007648: 7F0602FF 358637BD
	v_max3_f32 v128, |v64|, |v65|, v128                        // 000000007650: D1D30380 06028340
	v_max3_f32 v128, |v66|, |v67|, v128                        // 000000007658: D1D30380 06028742
	v_max3_f32 v129, |v68|, |v69|, v129                        // 000000007660: D1D30381 06068B44
	v_max3_f32 v129, |v70|, |v71|, v129                        // 000000007668: D1D30381 06068F46
	v_max3_f32 v130, |v72|, |v73|, v130                        // 000000007670: D1D30382 060A9348
	v_max3_f32 v130, |v74|, |v75|, v130                        // 000000007678: D1D30382 060A974A
	v_max3_f32 v131, |v76|, |v77|, v131                        // 000000007680: D1D30383 060E9B4C
	v_max3_f32 v131, |v78|, |v79|, v131                        // 000000007688: D1D30383 060E9F4E
	v_max3_f32 v128, |v80|, |v81|, v128                        // 000000007690: D1D30380 0602A350
	v_max3_f32 v128, |v82|, |v83|, v128                        // 000000007698: D1D30380 0602A752
	v_max3_f32 v129, |v84|, |v85|, v129                        // 0000000076A0: D1D30381 0606AB54
	v_max3_f32 v129, |v86|, |v87|, v129                        // 0000000076A8: D1D30381 0606AF56
	v_max3_f32 v130, |v88|, |v89|, v130                        // 0000000076B0: D1D30382 060AB358
	v_max3_f32 v130, |v90|, |v91|, v130                        // 0000000076B8: D1D30382 060AB75A
	v_max3_f32 v131, |v92|, |v93|, v131                        // 0000000076C0: D1D30383 060EBB5C
	v_max3_f32 v131, |v94|, |v95|, v131                        // 0000000076C8: D1D30383 060EBF5E
	v_mov_b32_e32 v58, v128                                    // 0000000076D0: 7E740380
	s_nop 1                                                    // 0000000076D4: BF800001
	v_permlane32_swap_b32_e32 v58, v128                        // 0000000076D8: 7E74B580
	v_max_f32_e32 v128, v58, v128                              // 0000000076DC: 1701013A
	v_mov_b32_e32 v58, v128                                    // 0000000076E0: 7E740380
	s_nop 1                                                    // 0000000076E4: BF800001
	v_permlane16_swap_b32_e32 v58, v128                        // 0000000076E8: 7E74B380
	v_max_f32_e32 v128, v58, v128                              // 0000000076EC: 1701013A
	v_mov_b32_e32 v58, v129                                    // 0000000076F0: 7E740381
	s_nop 1                                                    // 0000000076F4: BF800001
	v_permlane32_swap_b32_e32 v58, v129                        // 0000000076F8: 7E74B581
	v_max_f32_e32 v129, v58, v129                              // 0000000076FC: 1703033A
	v_mov_b32_e32 v58, v129                                    // 000000007700: 7E740381
	s_nop 1                                                    // 000000007704: BF800001
	v_permlane16_swap_b32_e32 v58, v129                        // 000000007708: 7E74B381
	v_max_f32_e32 v129, v58, v129                              // 00000000770C: 1703033A
	v_mov_b32_e32 v58, v130                                    // 000000007710: 7E740382
	s_nop 1                                                    // 000000007714: BF800001
	v_permlane32_swap_b32_e32 v58, v130                        // 000000007718: 7E74B582
	v_max_f32_e32 v130, v58, v130                              // 00000000771C: 1705053A
	v_mov_b32_e32 v58, v130                                    // 000000007720: 7E740382
	s_nop 1                                                    // 000000007724: BF800001
	v_permlane16_swap_b32_e32 v58, v130                        // 000000007728: 7E74B382
	v_max_f32_e32 v130, v58, v130                              // 00000000772C: 1705053A
	v_mov_b32_e32 v58, v131                                    // 000000007730: 7E740383
	s_nop 1                                                    // 000000007734: BF800001
	v_permlane32_swap_b32_e32 v58, v131                        // 000000007738: 7E74B583
	v_max_f32_e32 v131, v58, v131                              // 00000000773C: 1707073A
	v_mov_b32_e32 v58, v131                                    // 000000007740: 7E740383
	s_nop 1                                                    // 000000007744: BF800001
	v_permlane16_swap_b32_e32 v58, v131                        // 000000007748: 7E74B383
	v_max_f32_e32 v131, v58, v131                              // 00000000774C: 1707073A
	v_lshlrev_b32_e32 v58, 2, v0                               // 000000007750: 24740082
	s_mul_i32 s56, 64, s7                                      // 000000007754: 923807C0
	v_add_u32_e32 v58, s56, v58                                // 000000007758: 68747438
	s_mov_b32 s56, 0xffff                                      // 00000000775C: BEB800FF 0000FFFF
	s_mov_b32 s57, 0                                           // 000000007764: BEB90080
	s_mov_b64 exec, s[56:57]                                   // 000000007768: BEFE0138
	ds_write_b32 v58, v128 offset:37888                        // 00000000776C: D81A9400 0000803A
	ds_write_b32 v58, v129 offset:38144                        // 000000007774: D81A9500 0000813A
	ds_write_b32 v58, v130 offset:38400                        // 00000000777C: D81A9600 0000823A
	ds_write_b32 v58, v131 offset:38656                        // 000000007784: D81A9700 0000833A
	s_mov_b32 s56, -1                                          // 00000000778C: BEB800C1
	s_mov_b32 s57, -1                                          // 000000007790: BEB900C1
	s_mov_b64 exec, s[56:57]                                   // 000000007794: BEFE0138
	s_waitcnt lgkmcnt(0)                                       // 000000007798: BF8CC07F
	s_barrier                                                  // 00000000779C: BF8A0000
	v_lshlrev_b32_e32 v58, 2, v0                               // 0000000077A0: 24740082
	ds_read_b32 v252, v58 offset:37888                         // 0000000077A4: D86C9400 FC00003A
	ds_read_b32 v253, v58 offset:38144                         // 0000000077AC: D86C9500 FD00003A
	ds_read_b32 v254, v58 offset:38400                         // 0000000077B4: D86C9600 FE00003A
	ds_read_b32 v255, v58 offset:38656                         // 0000000077BC: D86C9700 FF00003A
	s_waitcnt lgkmcnt(0)                                       // 0000000077C4: BF8CC07F
	v_mov_b32_e32 v58, v252                                    // 0000000077C8: 7E7403FC
	s_nop 1                                                    // 0000000077CC: BF800001
	v_permlane32_swap_b32_e32 v58, v252                        // 0000000077D0: 7E74B5FC
	v_max_f32_e32 v252, v58, v252                              // 0000000077D4: 17F9F93A
	v_mov_b32_e32 v58, v252                                    // 0000000077D8: 7E7403FC
	s_nop 1                                                    // 0000000077DC: BF800001
	v_permlane16_swap_b32_e32 v58, v252                        // 0000000077E0: 7E74B3FC
	v_max_f32_e32 v252, v58, v252                              // 0000000077E4: 17F9F93A
	v_mov_b32_e32 v58, v253                                    // 0000000077E8: 7E7403FD
	s_nop 1                                                    // 0000000077EC: BF800001
	v_permlane32_swap_b32_e32 v58, v253                        // 0000000077F0: 7E74B5FD
	v_max_f32_e32 v253, v58, v253                              // 0000000077F4: 17FBFB3A
	v_mov_b32_e32 v58, v253                                    // 0000000077F8: 7E7403FD
	s_nop 1                                                    // 0000000077FC: BF800001
	v_permlane16_swap_b32_e32 v58, v253                        // 000000007800: 7E74B3FD
	v_max_f32_e32 v253, v58, v253                              // 000000007804: 17FBFB3A
	v_mov_b32_e32 v58, v254                                    // 000000007808: 7E7403FE
	s_nop 1                                                    // 00000000780C: BF800001
	v_permlane32_swap_b32_e32 v58, v254                        // 000000007810: 7E74B5FE
	v_max_f32_e32 v254, v58, v254                              // 000000007814: 17FDFD3A
	v_mov_b32_e32 v58, v254                                    // 000000007818: 7E7403FE
	s_nop 1                                                    // 00000000781C: BF800001
	v_permlane16_swap_b32_e32 v58, v254                        // 000000007820: 7E74B3FE
	v_max_f32_e32 v254, v58, v254                              // 000000007824: 17FDFD3A
	v_mov_b32_e32 v58, v255                                    // 000000007828: 7E7403FF
	s_nop 1                                                    // 00000000782C: BF800001
	v_permlane32_swap_b32_e32 v58, v255                        // 000000007830: 7E74B5FF
	v_max_f32_e32 v255, v58, v255                              // 000000007834: 17FFFF3A
	v_mov_b32_e32 v58, v255                                    // 000000007838: 7E7403FF
	s_nop 1                                                    // 00000000783C: BF800001
	v_permlane16_swap_b32_e32 v58, v255                        // 000000007840: 7E74B3FF
	v_max_f32_e32 v255, v58, v255                              // 000000007844: 17FFFF3A
	v_max_f32_e32 v128, v252, v128                             // 000000007848: 170101FC
	v_max_f32_e32 v129, v253, v129                             // 00000000784C: 170303FD
	v_max_f32_e32 v130, v254, v130                             // 000000007850: 170505FE
	v_max_f32_e32 v131, v255, v131                             // 000000007854: 170707FF
	v_rcp_f32_e32 v128, v128                                   // 000000007858: 7F004580
	v_rcp_f32_e32 v129, v129                                   // 00000000785C: 7F024581
	v_rcp_f32_e32 v130, v130                                   // 000000007860: 7F044582
	v_rcp_f32_e32 v131, v131                                   // 000000007864: 7F064583
	v_mov_b32_e32 v58, 0x43e00000                              // 000000007868: 7E7402FF 43E00000
	v_mul_f32_e32 v128, v58, v128                              // 000000007870: 0B01013A
	v_mul_f32_e32 v129, v58, v129                              // 000000007874: 0B03033A
	v_mul_f32_e32 v130, v58, v130                              // 000000007878: 0B05053A
	v_mul_f32_e32 v131, v58, v131                              // 00000000787C: 0B07073A
	v_mul_f32_e32 v64, v128, v64                               // 000000007880: 0A808180
	v_mul_f32_e32 v65, v128, v65                               // 000000007884: 0A828380
	v_mul_f32_e32 v66, v128, v66                               // 000000007888: 0A848580
	v_mul_f32_e32 v67, v128, v67                               // 00000000788C: 0A868780
	v_cvt_pk_fp8_f32 v64, v64, v65                             // 000000007890: D2A20040 00028340
	v_cvt_pk_fp8_f32 v64, v66, v67 op_sel:[0,0,1]              // 000000007898: D2A24040 00028742
	v_mul_f32_e32 v68, v129, v68                               // 0000000078A0: 0A888981
	v_mul_f32_e32 v69, v129, v69                               // 0000000078A4: 0A8A8B81
	v_mul_f32_e32 v70, v129, v70                               // 0000000078A8: 0A8C8D81
	v_mul_f32_e32 v71, v129, v71                               // 0000000078AC: 0A8E8F81
	v_cvt_pk_fp8_f32 v65, v68, v69                             // 0000000078B0: D2A20041 00028B44
	v_cvt_pk_fp8_f32 v65, v70, v71 op_sel:[0,0,1]              // 0000000078B8: D2A24041 00028F46
	v_mul_f32_e32 v72, v130, v72                               // 0000000078C0: 0A909182
	v_mul_f32_e32 v73, v130, v73                               // 0000000078C4: 0A929382
	v_mul_f32_e32 v74, v130, v74                               // 0000000078C8: 0A949582
	v_mul_f32_e32 v75, v130, v75                               // 0000000078CC: 0A969782
	v_cvt_pk_fp8_f32 v66, v72, v73                             // 0000000078D0: D2A20042 00029348
	v_cvt_pk_fp8_f32 v66, v74, v75 op_sel:[0,0,1]              // 0000000078D8: D2A24042 0002974A
	v_mul_f32_e32 v76, v131, v76                               // 0000000078E0: 0A989983
	v_mul_f32_e32 v77, v131, v77                               // 0000000078E4: 0A9A9B83
	v_mul_f32_e32 v78, v131, v78                               // 0000000078E8: 0A9C9D83
	v_mul_f32_e32 v79, v131, v79                               // 0000000078EC: 0A9E9F83
	v_cvt_pk_fp8_f32 v67, v76, v77                             // 0000000078F0: D2A20043 00029B4C
	v_cvt_pk_fp8_f32 v67, v78, v79 op_sel:[0,0,1]              // 0000000078F8: D2A24043 00029F4E
	v_mul_f32_e32 v80, v128, v80                               // 000000007900: 0AA0A180
	v_mul_f32_e32 v81, v128, v81                               // 000000007904: 0AA2A380
	v_mul_f32_e32 v82, v128, v82                               // 000000007908: 0AA4A580
	v_mul_f32_e32 v83, v128, v83                               // 00000000790C: 0AA6A780
	v_cvt_pk_fp8_f32 v68, v80, v81                             // 000000007910: D2A20044 0002A350
	v_cvt_pk_fp8_f32 v68, v82, v83 op_sel:[0,0,1]              // 000000007918: D2A24044 0002A752
	v_mul_f32_e32 v84, v129, v84                               // 000000007920: 0AA8A981
	v_mul_f32_e32 v85, v129, v85                               // 000000007924: 0AAAAB81
	v_mul_f32_e32 v86, v129, v86                               // 000000007928: 0AACAD81
	v_mul_f32_e32 v87, v129, v87                               // 00000000792C: 0AAEAF81
	v_cvt_pk_fp8_f32 v69, v84, v85                             // 000000007930: D2A20045 0002AB54
	v_cvt_pk_fp8_f32 v69, v86, v87 op_sel:[0,0,1]              // 000000007938: D2A24045 0002AF56
	v_mul_f32_e32 v88, v130, v88                               // 000000007940: 0AB0B182
	v_mul_f32_e32 v89, v130, v89                               // 000000007944: 0AB2B382
	v_mul_f32_e32 v90, v130, v90                               // 000000007948: 0AB4B582
	v_mul_f32_e32 v91, v130, v91                               // 00000000794C: 0AB6B782
	v_cvt_pk_fp8_f32 v70, v88, v89                             // 000000007950: D2A20046 0002B358
	v_cvt_pk_fp8_f32 v70, v90, v91 op_sel:[0,0,1]              // 000000007958: D2A24046 0002B75A
	v_mul_f32_e32 v92, v131, v92                               // 000000007960: 0AB8B983
	v_mul_f32_e32 v93, v131, v93                               // 000000007964: 0ABABB83
	v_mul_f32_e32 v94, v131, v94                               // 000000007968: 0ABCBD83
	v_mul_f32_e32 v95, v131, v95                               // 00000000796C: 0ABEBF83
	v_cvt_pk_fp8_f32 v71, v92, v93                             // 000000007970: D2A20047 0002BB5C
	v_cvt_pk_fp8_f32 v71, v94, v95 op_sel:[0,0,1]              // 000000007978: D2A24047 0002BF5E
	v_rcp_f32_e32 v21, v128                                    // 000000007980: 7E2A4580
	v_rcp_f32_e32 v22, v129                                    // 000000007984: 7E2C4581
	v_rcp_f32_e32 v23, v130                                    // 000000007988: 7E2E4582
	v_rcp_f32_e32 v24, v131                                    // 00000000798C: 7E304583
	v_lshrrev_b32_e32 v58, 5, v0                               // 000000007990: 20740085
	v_lshlrev_b32_e32 v59, 6, v58                              // 000000007994: 24767486
	v_and_b32_e32 v58, 31, v0                                  // 000000007998: 2674009F
	v_lshrrev_b32_e32 v60, 4, v58                              // 00000000799C: 20787484
	v_add_u32_e32 v59, v60, v59                                // 0000000079A0: 6876773C
	v_and_b32_e32 v58, 15, v0                                  // 0000000079A4: 2674008F
	v_lshlrev_b32_e32 v58, 1, v58                              // 0000000079A8: 24747481
	v_add_u32_e32 v59, v58, v59                                // 0000000079AC: 6876773A
	v_lshlrev_b32_e32 v58, 2, v59                              // 0000000079B0: 24747682
	s_mov_b32 s56, 0                                           // 0000000079B4: BEB80080
	s_lshr_b32 s57, s7, 1                                      // 0000000079B8: 8F398107
	s_mul_i32 s57, s57, 0x200                                  // 0000000079BC: 9239FF39 00000200
	s_add_u32 s56, s57, s56                                    // 0000000079C4: 80383839
	s_and_b32 s57, s7, 1                                       // 0000000079C8: 86398107
	s_mul_i32 s57, s57, 0x80                                   // 0000000079CC: 9239FF39 00000080
	s_add_u32 s56, s57, s56                                    // 0000000079D4: 80383839
	v_add_u32_e64 v58, v58, s56                                // 0000000079D8: D134003A 0000713A
	ds_write_b32 v58, v64 offset:41984                         // 0000000079E0: D81AA400 0000403A
	ds_write_b32 v58, v65 offset:44032                         // 0000000079E8: D81AAC00 0000413A
	ds_write_b32 v58, v66 offset:46080                         // 0000000079F0: D81AB400 0000423A
	ds_write_b32 v58, v67 offset:48128                         // 0000000079F8: D81ABC00 0000433A
	ds_write_b32 v58, v68 offset:43008                         // 000000007A00: D81AA800 0000443A
	ds_write_b32 v58, v69 offset:45056                         // 000000007A08: D81AB000 0000453A
	ds_write_b32 v58, v70 offset:47104                         // 000000007A10: D81AB800 0000463A
	ds_write_b32 v58, v71 offset:49152                         // 000000007A18: D81AC000 0000473A
	s_waitcnt lgkmcnt(0)                                       // 000000007A20: BF8CC07F
	s_barrier                                                  // 000000007A24: BF8A0000
	v_and_b32_e32 v58, 31, v0                                  // 000000007A28: 2674009F
	v_lshrrev_b32_e32 v58, 4, v58                              // 000000007A2C: 20747484
	v_lshlrev_b32_e32 v59, 5, v58                              // 000000007A30: 24767485
	v_lshrrev_b32_e32 v58, 5, v0                               // 000000007A34: 20740085
	v_lshlrev_b32_e32 v58, 7, v58                              // 000000007A38: 24747487
	v_add_u32_e32 v59, v58, v59                                // 000000007A3C: 6876773A
	v_and_b32_e32 v58, 15, v0                                  // 000000007A40: 2674008F
	v_lshlrev_b32_e32 v58, 1, v58                              // 000000007A44: 24747481
	v_add_u32_e32 v59, v58, v59                                // 000000007A48: 6876773A
	v_lshlrev_b32_e32 v58, 2, v59                              // 000000007A4C: 24747682
	ds_read_b64 a[64:65], v58 offset:41984                     // 000000007A50: DAECA400 4000003A
	ds_read_b64 a[66:67], v58 offset:42240                     // 000000007A58: DAECA500 4200003A
	ds_read_b64 a[68:69], v58 offset:43008                     // 000000007A60: DAECA800 4400003A
	ds_read_b64 a[70:71], v58 offset:43264                     // 000000007A68: DAECA900 4600003A
	ds_read_b64 a[72:73], v58 offset:44032                     // 000000007A70: DAECAC00 4800003A
	ds_read_b64 a[74:75], v58 offset:44288                     // 000000007A78: DAECAD00 4A00003A
	ds_read_b64 a[76:77], v58 offset:45056                     // 000000007A80: DAECB000 4C00003A
	ds_read_b64 a[78:79], v58 offset:45312                     // 000000007A88: DAECB100 4E00003A
	ds_read_b64 a[80:81], v58 offset:46080                     // 000000007A90: DAECB400 5000003A
	ds_read_b64 a[82:83], v58 offset:46336                     // 000000007A98: DAECB500 5200003A
	ds_read_b64 a[84:85], v58 offset:47104                     // 000000007AA0: DAECB800 5400003A
	ds_read_b64 a[86:87], v58 offset:47360                     // 000000007AA8: DAECB900 5600003A
	ds_read_b64 a[88:89], v58 offset:48128                     // 000000007AB0: DAECBC00 5800003A
	ds_read_b64 a[90:91], v58 offset:48384                     // 000000007AB8: DAECBD00 5A00003A
	ds_read_b64 a[92:93], v58 offset:49152                     // 000000007AC0: DAECC000 5C00003A
	ds_read_b64 a[94:95], v58 offset:49408                     // 000000007AC8: DAECC100 5E00003A
	v_lshlrev_b32_e32 v58, 2, v0                               // 000000007AD0: 24740082
	s_mul_i32 s56, s78, s67                                    // 000000007AD4: 9238434E
	v_add_u32_e64 v96, v58, s56                                // 000000007AD8: D1340060 0000713A
	v_mov_b32_e32 v97, 0                                       // 000000007AE0: 7EC20280
	s_mul_i32 s56, s79, s67                                    // 000000007AE4: 9238434F
	v_add_u32_e64 v98, v58, s56                                // 000000007AE8: D1340062 0000713A
	v_mov_b32_e32 v99, 0                                       // 000000007AF0: 7EC60280
	s_mul_i32 s56, s80, s67                                    // 000000007AF4: 92384350
	v_add_u32_e64 v100, v58, s56                               // 000000007AF8: D1340064 0000713A
	v_mov_b32_e32 v101, 0                                      // 000000007B00: 7ECA0280
	s_mul_i32 s56, s81, s67                                    // 000000007B04: 92384351
	v_add_u32_e64 v102, v58, s56                               // 000000007B08: D1340066 0000713A
	v_mov_b32_e32 v103, 0                                      // 000000007B10: 7ECE0280
	s_mul_i32 s56, s82, s67                                    // 000000007B14: 92384352
	v_add_u32_e64 v104, v58, s56                               // 000000007B18: D1340068 0000713A
	v_mov_b32_e32 v105, 0                                      // 000000007B20: 7ED20280
	s_mul_i32 s56, s83, s67                                    // 000000007B24: 92384353
	v_add_u32_e64 v106, v58, s56                               // 000000007B28: D134006A 0000713A
	v_mov_b32_e32 v107, 0                                      // 000000007B30: 7ED60280
	s_mul_i32 s56, s84, s67                                    // 000000007B34: 92384354
	v_add_u32_e64 v108, v58, s56                               // 000000007B38: D134006C 0000713A
	v_mov_b32_e32 v109, 0                                      // 000000007B40: 7EDA0280
	s_mul_i32 s56, s85, s67                                    // 000000007B44: 92384355
	v_add_u32_e64 v110, v58, s56                               // 000000007B48: D134006E 0000713A
	v_mov_b32_e32 v111, 0                                      // 000000007B50: 7EDE0280
	s_mul_i32 s56, s86, s67                                    // 000000007B54: 92384356
	v_add_u32_e64 v112, v58, s56                               // 000000007B58: D1340070 0000713A
	v_mov_b32_e32 v113, 0                                      // 000000007B60: 7EE20280
	s_mul_i32 s56, s87, s67                                    // 000000007B64: 92384357
	v_add_u32_e64 v114, v58, s56                               // 000000007B68: D1340072 0000713A
	v_mov_b32_e32 v115, 0                                      // 000000007B70: 7EE60280
	s_mul_i32 s56, s88, s67                                    // 000000007B74: 92384358
	v_add_u32_e64 v116, v58, s56                               // 000000007B78: D1340074 0000713A
	v_mov_b32_e32 v117, 0                                      // 000000007B80: 7EEA0280
	s_mul_i32 s56, s89, s67                                    // 000000007B84: 92384359
	v_add_u32_e64 v118, v58, s56                               // 000000007B88: D1340076 0000713A
	v_mov_b32_e32 v119, 0                                      // 000000007B90: 7EEE0280
	s_mul_i32 s56, s90, s67                                    // 000000007B94: 9238435A
	v_add_u32_e64 v120, v58, s56                               // 000000007B98: D1340078 0000713A
	v_mov_b32_e32 v121, 0                                      // 000000007BA0: 7EF20280
	s_mul_i32 s56, s91, s67                                    // 000000007BA4: 9238435B
	v_add_u32_e64 v122, v58, s56                               // 000000007BA8: D134007A 0000713A
	v_mov_b32_e32 v123, 0                                      // 000000007BB0: 7EF60280
	s_mul_i32 s56, s92, s67                                    // 000000007BB4: 9238435C
	v_add_u32_e64 v124, v58, s56                               // 000000007BB8: D134007C 0000713A
	v_mov_b32_e32 v125, 0                                      // 000000007BC0: 7EFA0280
	s_mul_i32 s56, s93, s67                                    // 000000007BC4: 9238435D
	v_add_u32_e64 v126, v58, s56                               // 000000007BC8: D134007E 0000713A
	v_mov_b32_e32 v127, 0                                      // 000000007BD0: 7EFE0280
	s_add_u32 s12, s52, s12                                    // 000000007BD4: 800C0C34
	s_addc_u32 s13, 0, s13                                     // 000000007BD8: 820D0D80
	s_add_u32 s16, s75, s16                                    // 000000007BDC: 8010104B
	s_addc_u32 s17, 0, s17                                     // 000000007BE0: 82111180
	s_mov_b32 s76, 0                                           // 000000007BE4: BECC0080
	s_waitcnt vmcnt(0) expcnt(0) lgkmcnt(0)                    // 000000007BE8: BF8C0000

0000000000007bec <label_137B>:
	s_waitcnt vmcnt(4)                                         // 000000007BEC: BF8C0F74
	s_barrier                                                  // 000000007BF0: BF8A0000
	v_mfma_f32_16x16x128_f8f6f4 v[128:131], a[0:7], a[64:71], 0// 000000007BF4: D3AD0080 1A028100
	buffer_load_dwordx4 a[32:35], v49, s[12:15], 0 offen       // 000000007BFC: E05C1000 80832031
	buffer_load_dwordx4 a[36:39], v49, s[12:15], 0 offen offset:1024// 000000007C04: E05C1400 80832431
	v_mfma_f32_16x16x128_f8f6f4 v[132:135], a[0:7], a[72:79], 0// 000000007C0C: D3AD0084 1A029100
	v_mfma_f32_16x16x128_f8f6f4 v[136:139], a[0:7], a[80:87], 0// 000000007C14: D3AD0088 1A02A100
	buffer_load_dwordx4 a[40:43], v50, s[12:15], 0 offen       // 000000007C1C: E05C1000 80832832
	buffer_load_dwordx4 a[44:47], v50, s[12:15], 0 offen offset:1024// 000000007C24: E05C1400 80832C32
	buffer_load_dword v38, v8, s[16:19], 0 offen               // 000000007C2C: E0501000 80042608
	v_mfma_f32_16x16x128_f8f6f4 v[140:143], a[0:7], a[88:95], 0// 000000007C34: D3AD008C 1A02B100
	s_waitcnt vmcnt(5)                                         // 000000007C3C: BF8C0F75
	v_mfma_f32_16x16x128_f8f6f4 v[144:147], a[8:15], a[64:71], 0// 000000007C40: D3AD0090 1A028108
	buffer_load_dwordx4 a[48:51], v51, s[12:15], 0 offen       // 000000007C48: E05C1000 80833033
	buffer_load_dwordx4 a[52:55], v51, s[12:15], 0 offen offset:1024// 000000007C50: E05C1400 80833433
	v_mfma_f32_16x16x128_f8f6f4 v[148:151], a[8:15], a[72:79], 0// 000000007C58: D3AD0094 1A029108
	v_mfma_f32_16x16x128_f8f6f4 v[152:155], a[8:15], a[80:87], 0// 000000007C60: D3AD0098 1A02A108
	buffer_load_dwordx4 a[56:59], v52, s[12:15], 0 offen       // 000000007C68: E05C1000 80833834
	buffer_load_dwordx4 a[60:63], v52, s[12:15], 0 offen offset:1024// 000000007C70: E05C1400 80833C34
	v_mfma_f32_16x16x128_f8f6f4 v[156:159], a[8:15], a[88:95], 0// 000000007C78: D3AD009C 1A02B108
	s_waitcnt vmcnt(5)                                         // 000000007C80: BF8C0F75
	v_mfma_f32_16x16x128_f8f6f4 v[160:163], a[16:23], a[64:71], 0// 000000007C84: D3AD00A0 1A028110
	v_mfma_f32_16x16x128_f8f6f4 v[164:167], a[16:23], a[72:79], 0// 000000007C8C: D3AD00A4 1A029110
	v_mfma_f32_16x16x128_f8f6f4 v[168:171], a[16:23], a[80:87], 0// 000000007C94: D3AD00A8 1A02A110
	v_mfma_f32_16x16x128_f8f6f4 v[172:175], a[16:23], a[88:95], 0// 000000007C9C: D3AD00AC 1A02B110
	s_waitcnt vmcnt(5)                                         // 000000007CA4: BF8C0F75
	v_mfma_f32_16x16x128_f8f6f4 v[176:179], a[24:31], a[64:71], 0// 000000007CA8: D3AD00B0 1A028118
	v_mfma_f32_16x16x128_f8f6f4 v[180:183], a[24:31], a[72:79], 0// 000000007CB0: D3AD00B4 1A029118
	v_mfma_f32_16x16x128_f8f6f4 v[184:187], a[24:31], a[80:87], 0// 000000007CB8: D3AD00B8 1A02A118
	v_mfma_f32_16x16x128_f8f6f4 v[188:191], a[24:31], a[88:95], 0// 000000007CC0: D3AD00BC 1A02B118
	v_mul_f32_dpp v58, v37, v21 row_newbcast:0 row_mask:0xf bank_mask:0xf// 000000007CC8: 0A742AFA FF015025
	v_mov_b32_e32 v59, v58                                     // 000000007CD0: 7E76033A
	v_pk_mul_f32 v[128:129], v[58:59], v[128:129]              // 000000007CD4: D3B14080 1803013A
	v_pk_mul_f32 v[130:131], v[58:59], v[130:131]              // 000000007CDC: D3B14082 1803053A
	v_pk_mul_f32 v[144:145], v[58:59], v[144:145]              // 000000007CE4: D3B14090 1803213A
	v_pk_mul_f32 v[146:147], v[58:59], v[146:147]              // 000000007CEC: D3B14092 1803253A
	v_mul_f32_dpp v58, v37, v21 row_newbcast:1 row_mask:0xf bank_mask:0xf// 000000007CF4: 0A742AFA FF015125
	v_mov_b32_e32 v59, v58                                     // 000000007CFC: 7E76033A
	v_pk_mul_f32 v[160:161], v[58:59], v[160:161]              // 000000007D00: D3B140A0 1803413A
	v_pk_mul_f32 v[162:163], v[58:59], v[162:163]              // 000000007D08: D3B140A2 1803453A
	v_pk_mul_f32 v[176:177], v[58:59], v[176:177]              // 000000007D10: D3B140B0 1803613A
	v_pk_mul_f32 v[178:179], v[58:59], v[178:179]              // 000000007D18: D3B140B2 1803653A
	v_mul_f32_dpp v58, v37, v22 row_newbcast:0 row_mask:0xf bank_mask:0xf// 000000007D20: 0A742CFA FF015025
	v_mov_b32_e32 v59, v58                                     // 000000007D28: 7E76033A
	v_pk_mul_f32 v[132:133], v[58:59], v[132:133]              // 000000007D2C: D3B14084 1803093A
	v_pk_mul_f32 v[134:135], v[58:59], v[134:135]              // 000000007D34: D3B14086 18030D3A
	v_pk_mul_f32 v[148:149], v[58:59], v[148:149]              // 000000007D3C: D3B14094 1803293A
	v_pk_mul_f32 v[150:151], v[58:59], v[150:151]              // 000000007D44: D3B14096 18032D3A
	v_mul_f32_dpp v58, v37, v22 row_newbcast:1 row_mask:0xf bank_mask:0xf// 000000007D4C: 0A742CFA FF015125
	v_mov_b32_e32 v59, v58                                     // 000000007D54: 7E76033A
	v_pk_mul_f32 v[164:165], v[58:59], v[164:165]              // 000000007D58: D3B140A4 1803493A
	v_pk_mul_f32 v[166:167], v[58:59], v[166:167]              // 000000007D60: D3B140A6 18034D3A
	v_pk_mul_f32 v[180:181], v[58:59], v[180:181]              // 000000007D68: D3B140B4 1803693A
	v_pk_mul_f32 v[182:183], v[58:59], v[182:183]              // 000000007D70: D3B140B6 18036D3A
	v_mul_f32_dpp v58, v37, v23 row_newbcast:0 row_mask:0xf bank_mask:0xf// 000000007D78: 0A742EFA FF015025
	v_mov_b32_e32 v59, v58                                     // 000000007D80: 7E76033A
	v_pk_mul_f32 v[136:137], v[58:59], v[136:137]              // 000000007D84: D3B14088 1803113A
	v_pk_mul_f32 v[138:139], v[58:59], v[138:139]              // 000000007D8C: D3B1408A 1803153A
	v_pk_mul_f32 v[152:153], v[58:59], v[152:153]              // 000000007D94: D3B14098 1803313A
	v_pk_mul_f32 v[154:155], v[58:59], v[154:155]              // 000000007D9C: D3B1409A 1803353A
	v_mul_f32_dpp v58, v37, v23 row_newbcast:1 row_mask:0xf bank_mask:0xf// 000000007DA4: 0A742EFA FF015125
	v_mov_b32_e32 v59, v58                                     // 000000007DAC: 7E76033A
	v_pk_mul_f32 v[168:169], v[58:59], v[168:169]              // 000000007DB0: D3B140A8 1803513A
	v_pk_mul_f32 v[170:171], v[58:59], v[170:171]              // 000000007DB8: D3B140AA 1803553A
	v_pk_mul_f32 v[184:185], v[58:59], v[184:185]              // 000000007DC0: D3B140B8 1803713A
	v_pk_mul_f32 v[186:187], v[58:59], v[186:187]              // 000000007DC8: D3B140BA 1803753A
	v_mul_f32_dpp v58, v37, v24 row_newbcast:0 row_mask:0xf bank_mask:0xf// 000000007DD0: 0A7430FA FF015025
	v_mov_b32_e32 v59, v58                                     // 000000007DD8: 7E76033A
	v_pk_mul_f32 v[140:141], v[58:59], v[140:141]              // 000000007DDC: D3B1408C 1803193A
	v_pk_mul_f32 v[142:143], v[58:59], v[142:143]              // 000000007DE4: D3B1408E 18031D3A
	v_pk_mul_f32 v[156:157], v[58:59], v[156:157]              // 000000007DEC: D3B1409C 1803393A
	v_pk_mul_f32 v[158:159], v[58:59], v[158:159]              // 000000007DF4: D3B1409E 18033D3A
	v_mul_f32_dpp v58, v37, v24 row_newbcast:1 row_mask:0xf bank_mask:0xf// 000000007DFC: 0A7430FA FF015125
	v_mov_b32_e32 v59, v58                                     // 000000007E04: 7E76033A
	v_pk_mul_f32 v[172:173], v[58:59], v[172:173]              // 000000007E08: D3B140AC 1803593A
	v_pk_mul_f32 v[174:175], v[58:59], v[174:175]              // 000000007E10: D3B140AE 18035D3A
	v_pk_mul_f32 v[188:189], v[58:59], v[188:189]              // 000000007E18: D3B140BC 1803793A
	v_pk_mul_f32 v[190:191], v[58:59], v[190:191]              // 000000007E20: D3B140BE 18037D3A
	s_add_u32 s56, 0x200, s76                                  // 000000007E28: 80384CFF 00000200
	s_cmp_lt_u32 s56, s77                                      // 000000007E30: BF0A4D38
	s_cselect_b32 s52, s52, 0                                  // 000000007E34: 85348034
	s_cselect_b32 s74, s74, 0                                  // 000000007E38: 854A804A
	s_cselect_b32 s75, s75, 0                                  // 000000007E3C: 854B804B
	s_add_u32 s12, s52, s12                                    // 000000007E40: 800C0C34
	s_addc_u32 s13, 0, s13                                     // 000000007E44: 820D0D80
	s_add_u32 s16, s75, s16                                    // 000000007E48: 8010104B
	s_addc_u32 s17, 0, s17                                     // 000000007E4C: 82111180
	v_mov_b32_e32 v58, v39                                     // 000000007E50: 7E740327
	v_mov_b32_e32 v59, v39                                     // 000000007E54: 7E760327
	v_pk_mul_f32 v[128:129], v[58:59], v[128:129]              // 000000007E58: D3B14080 1803013A
	v_pk_mul_f32 v[130:131], v[58:59], v[130:131]              // 000000007E60: D3B14082 1803053A
	v_pk_mul_f32 v[144:145], v[58:59], v[144:145]              // 000000007E68: D3B14090 1803213A
	v_pk_mul_f32 v[146:147], v[58:59], v[146:147]              // 000000007E70: D3B14092 1803253A
	v_pk_mul_f32 v[160:161], v[58:59], v[160:161]              // 000000007E78: D3B140A0 1803413A
	v_pk_mul_f32 v[162:163], v[58:59], v[162:163]              // 000000007E80: D3B140A2 1803453A
	v_pk_mul_f32 v[176:177], v[58:59], v[176:177]              // 000000007E88: D3B140B0 1803613A
	v_pk_mul_f32 v[178:179], v[58:59], v[178:179]              // 000000007E90: D3B140B2 1803653A
	v_mov_b32_e32 v58, v40                                     // 000000007E98: 7E740328
	v_mov_b32_e32 v59, v40                                     // 000000007E9C: 7E760328
	v_pk_mul_f32 v[132:133], v[58:59], v[132:133]              // 000000007EA0: D3B14084 1803093A
	v_pk_mul_f32 v[134:135], v[58:59], v[134:135]              // 000000007EA8: D3B14086 18030D3A
	v_pk_mul_f32 v[148:149], v[58:59], v[148:149]              // 000000007EB0: D3B14094 1803293A
	v_pk_mul_f32 v[150:151], v[58:59], v[150:151]              // 000000007EB8: D3B14096 18032D3A
	v_pk_mul_f32 v[164:165], v[58:59], v[164:165]              // 000000007EC0: D3B140A4 1803493A
	v_pk_mul_f32 v[166:167], v[58:59], v[166:167]              // 000000007EC8: D3B140A6 18034D3A
	v_pk_mul_f32 v[180:181], v[58:59], v[180:181]              // 000000007ED0: D3B140B4 1803693A
	v_pk_mul_f32 v[182:183], v[58:59], v[182:183]              // 000000007ED8: D3B140B6 18036D3A
	v_mov_b32_e32 v58, v41                                     // 000000007EE0: 7E740329
	v_mov_b32_e32 v59, v41                                     // 000000007EE4: 7E760329
	v_pk_mul_f32 v[136:137], v[58:59], v[136:137]              // 000000007EE8: D3B14088 1803113A
	v_pk_mul_f32 v[138:139], v[58:59], v[138:139]              // 000000007EF0: D3B1408A 1803153A
	v_pk_mul_f32 v[152:153], v[58:59], v[152:153]              // 000000007EF8: D3B14098 1803313A
	v_pk_mul_f32 v[154:155], v[58:59], v[154:155]              // 000000007F00: D3B1409A 1803353A
	v_pk_mul_f32 v[168:169], v[58:59], v[168:169]              // 000000007F08: D3B140A8 1803513A
	v_pk_mul_f32 v[170:171], v[58:59], v[170:171]              // 000000007F10: D3B140AA 1803553A
	v_pk_mul_f32 v[184:185], v[58:59], v[184:185]              // 000000007F18: D3B140B8 1803713A
	v_pk_mul_f32 v[186:187], v[58:59], v[186:187]              // 000000007F20: D3B140BA 1803753A
	v_mov_b32_e32 v58, v42                                     // 000000007F28: 7E74032A
	v_mov_b32_e32 v59, v42                                     // 000000007F2C: 7E76032A
	v_pk_mul_f32 v[140:141], v[58:59], v[140:141]              // 000000007F30: D3B1408C 1803193A
	v_pk_mul_f32 v[142:143], v[58:59], v[142:143]              // 000000007F38: D3B1408E 18031D3A
	v_pk_mul_f32 v[156:157], v[58:59], v[156:157]              // 000000007F40: D3B1409C 1803393A
	v_pk_mul_f32 v[158:159], v[58:59], v[158:159]              // 000000007F48: D3B1409E 18033D3A
	v_pk_mul_f32 v[172:173], v[58:59], v[172:173]              // 000000007F50: D3B140AC 1803593A
	v_pk_mul_f32 v[174:175], v[58:59], v[174:175]              // 000000007F58: D3B140AE 18035D3A
	v_pk_mul_f32 v[188:189], v[58:59], v[188:189]              // 000000007F60: D3B140BC 1803793A
	v_pk_mul_f32 v[190:191], v[58:59], v[190:191]              // 000000007F68: D3B140BE 18037D3A
	v_cvt_pk_bf16_f32 v128, v128, v129                         // 000000007F70: D2680080 00030380
	v_cvt_pk_bf16_f32 v129, v130, v131                         // 000000007F78: D2680081 00030782
	v_cvt_pk_bf16_f32 v130, v132, v133                         // 000000007F80: D2680082 00030B84
	v_cvt_pk_bf16_f32 v131, v134, v135                         // 000000007F88: D2680083 00030F86
	v_cvt_pk_bf16_f32 v132, v136, v137                         // 000000007F90: D2680084 00031388
	v_cvt_pk_bf16_f32 v133, v138, v139                         // 000000007F98: D2680085 0003178A
	v_cvt_pk_bf16_f32 v134, v140, v141                         // 000000007FA0: D2680086 00031B8C
	v_cvt_pk_bf16_f32 v135, v142, v143                         // 000000007FA8: D2680087 00031F8E
	v_cvt_pk_bf16_f32 v136, v144, v145                         // 000000007FB0: D2680088 00032390
	v_cvt_pk_bf16_f32 v137, v146, v147                         // 000000007FB8: D2680089 00032792
	v_cvt_pk_bf16_f32 v138, v148, v149                         // 000000007FC0: D268008A 00032B94
	v_cvt_pk_bf16_f32 v139, v150, v151                         // 000000007FC8: D268008B 00032F96
	v_cvt_pk_bf16_f32 v140, v152, v153                         // 000000007FD0: D268008C 00033398
	v_cvt_pk_bf16_f32 v141, v154, v155                         // 000000007FD8: D268008D 0003379A
	v_cvt_pk_bf16_f32 v142, v156, v157                         // 000000007FE0: D268008E 00033B9C
	v_cvt_pk_bf16_f32 v143, v158, v159                         // 000000007FE8: D268008F 00033F9E
	v_cvt_pk_bf16_f32 v144, v160, v161                         // 000000007FF0: D2680090 000343A0
	v_cvt_pk_bf16_f32 v145, v162, v163                         // 000000007FF8: D2680091 000347A2
	v_cvt_pk_bf16_f32 v146, v164, v165                         // 000000008000: D2680092 00034BA4
	v_cvt_pk_bf16_f32 v147, v166, v167                         // 000000008008: D2680093 00034FA6
	v_cvt_pk_bf16_f32 v148, v168, v169                         // 000000008010: D2680094 000353A8
	v_cvt_pk_bf16_f32 v149, v170, v171                         // 000000008018: D2680095 000357AA
	v_cvt_pk_bf16_f32 v150, v172, v173                         // 000000008020: D2680096 00035BAC
	v_cvt_pk_bf16_f32 v151, v174, v175                         // 000000008028: D2680097 00035FAE
	v_cvt_pk_bf16_f32 v152, v176, v177                         // 000000008030: D2680098 000363B0
	v_cvt_pk_bf16_f32 v153, v178, v179                         // 000000008038: D2680099 000367B2
	v_cvt_pk_bf16_f32 v154, v180, v181                         // 000000008040: D268009A 00036BB4
	v_cvt_pk_bf16_f32 v155, v182, v183                         // 000000008048: D268009B 00036FB6
	v_cvt_pk_bf16_f32 v156, v184, v185                         // 000000008050: D268009C 000373B8
	v_cvt_pk_bf16_f32 v157, v186, v187                         // 000000008058: D268009D 000377BA
	v_cvt_pk_bf16_f32 v158, v188, v189                         // 000000008060: D268009E 00037BBC
	v_cvt_pk_bf16_f32 v159, v190, v191                         // 000000008068: D268009F 00037FBE
	ds_write_b64 v4, v[128:129]                                // 000000008070: D89A0000 00008004
	ds_write_b64 v4, v[130:131] offset:8704                    // 000000008078: D89A2200 00008204
	ds_write_b64 v5, v[132:133]                                // 000000008080: D89A0000 00008405
	ds_write_b64 v5, v[134:135] offset:8704                    // 000000008088: D89A2200 00008605
	ds_write_b64 v4, v[136:137] offset:2176                    // 000000008090: D89A0880 00008804
	ds_write_b64 v4, v[138:139] offset:10880                   // 000000008098: D89A2A80 00008A04
	ds_write_b64 v5, v[140:141] offset:2176                    // 0000000080A0: D89A0880 00008C05
	ds_write_b64 v5, v[142:143] offset:10880                   // 0000000080A8: D89A2A80 00008E05
	ds_write_b64 v4, v[144:145] offset:4352                    // 0000000080B0: D89A1100 00009004
	ds_write_b64 v4, v[146:147] offset:13056                   // 0000000080B8: D89A3300 00009204
	ds_write_b64 v5, v[148:149] offset:4352                    // 0000000080C0: D89A1100 00009405
	ds_write_b64 v5, v[150:151] offset:13056                   // 0000000080C8: D89A3300 00009605
	ds_write_b64 v4, v[152:153] offset:6528                    // 0000000080D0: D89A1980 00009804
	ds_write_b64 v4, v[154:155] offset:15232                   // 0000000080D8: D89A3B80 00009A04
	ds_write_b64 v5, v[156:157] offset:6528                    // 0000000080E0: D89A1980 00009C05
	ds_write_b64 v5, v[158:159] offset:15232                   // 0000000080E8: D89A3B80 00009E05
	s_waitcnt lgkmcnt(0)                                       // 0000000080F0: BF8CC07F
	s_barrier                                                  // 0000000080F4: BF8A0000
	ds_read_b32 v64, v6                                        // 0000000080F8: D86C0000 40000006
	ds_read_b32 v65, v6 offset:4352                            // 000000008100: D86C1100 41000006
	ds_read_b32 v66, v6 offset:8                               // 000000008108: D86C0008 42000006
	ds_read_b32 v67, v6 offset:4360                            // 000000008110: D86C1108 43000006
	ds_read_b32 v68, v6 offset:32                              // 000000008118: D86C0020 44000006
	ds_read_b32 v69, v6 offset:4384                            // 000000008120: D86C1120 45000006
	ds_read_b32 v70, v6 offset:40                              // 000000008128: D86C0028 46000006
	ds_read_b32 v71, v6 offset:4392                            // 000000008130: D86C1128 47000006
	ds_read_b32 v72, v6 offset:8704                            // 000000008138: D86C2200 48000006
	ds_read_b32 v73, v6 offset:13056                           // 000000008140: D86C3300 49000006
	ds_read_b32 v74, v6 offset:8712                            // 000000008148: D86C2208 4A000006
	ds_read_b32 v75, v6 offset:13064                           // 000000008150: D86C3308 4B000006
	ds_read_b32 v76, v6 offset:8736                            // 000000008158: D86C2220 4C000006
	ds_read_b32 v77, v6 offset:13088                           // 000000008160: D86C3320 4D000006
	ds_read_b32 v78, v6 offset:8744                            // 000000008168: D86C2228 4E000006
	ds_read_b32 v79, v6 offset:13096                           // 000000008170: D86C3328 4F000006
	ds_read_b32 v80, v7                                        // 000000008178: D86C0000 50000007
	ds_read_b32 v81, v7 offset:4352                            // 000000008180: D86C1100 51000007
	ds_read_b32 v82, v7 offset:8                               // 000000008188: D86C0008 52000007
	ds_read_b32 v83, v7 offset:4360                            // 000000008190: D86C1108 53000007
	ds_read_b32 v84, v7 offset:32                              // 000000008198: D86C0020 54000007
	ds_read_b32 v85, v7 offset:4384                            // 0000000081A0: D86C1120 55000007
	ds_read_b32 v86, v7 offset:40                              // 0000000081A8: D86C0028 56000007
	ds_read_b32 v87, v7 offset:4392                            // 0000000081B0: D86C1128 57000007
	ds_read_b32 v88, v7 offset:8704                            // 0000000081B8: D86C2200 58000007
	ds_read_b32 v89, v7 offset:13056                           // 0000000081C0: D86C3300 59000007
	ds_read_b32 v90, v7 offset:8712                            // 0000000081C8: D86C2208 5A000007
	ds_read_b32 v91, v7 offset:13064                           // 0000000081D0: D86C3308 5B000007
	ds_read_b32 v92, v7 offset:8736                            // 0000000081D8: D86C2220 5C000007
	ds_read_b32 v93, v7 offset:13088                           // 0000000081E0: D86C3320 5D000007
	ds_read_b32 v94, v7 offset:8744                            // 0000000081E8: D86C2228 5E000007
	ds_read_b32 v95, v7 offset:13096                           // 0000000081F0: D86C3328 5F000007
	s_waitcnt lgkmcnt(0)                                       // 0000000081F8: BF8CC07F
	s_setvskip s20, 0                                          // 0000000081FC: BF108014
	global_atomic_pk_add_bf16 v96, v64, s[8:9]                 // 000000008200: DD488000 00084060
	s_setvskip 0, 0                                            // 000000008208: BF108080
	s_setvskip s20, 0                                          // 00000000820C: BF108014
	global_atomic_pk_add_bf16 v96, v65, s[8:9] offset:256      // 000000008210: DD488100 00084160
	s_setvskip 0, 0                                            // 000000008218: BF108080
	s_setvskip s20, 1                                          // 00000000821C: BF108114
	global_atomic_pk_add_bf16 v98, v66, s[8:9]                 // 000000008220: DD488000 00084262
	s_setvskip 0, 0                                            // 000000008228: BF108080
	s_setvskip s20, 1                                          // 00000000822C: BF108114
	global_atomic_pk_add_bf16 v98, v67, s[8:9] offset:256      // 000000008230: DD488100 00084362
	s_setvskip 0, 0                                            // 000000008238: BF108080
	s_setvskip s20, 2                                          // 00000000823C: BF108214
	global_atomic_pk_add_bf16 v100, v68, s[8:9]                // 000000008240: DD488000 00084464
	s_setvskip 0, 0                                            // 000000008248: BF108080
	s_setvskip s20, 2                                          // 00000000824C: BF108214
	global_atomic_pk_add_bf16 v100, v69, s[8:9] offset:256     // 000000008250: DD488100 00084564
	s_setvskip 0, 0                                            // 000000008258: BF108080
	s_setvskip s20, 3                                          // 00000000825C: BF108314
	global_atomic_pk_add_bf16 v102, v70, s[8:9]                // 000000008260: DD488000 00084666
	s_setvskip 0, 0                                            // 000000008268: BF108080
	s_setvskip s20, 3                                          // 00000000826C: BF108314
	global_atomic_pk_add_bf16 v102, v71, s[8:9] offset:256     // 000000008270: DD488100 00084766
	s_setvskip 0, 0                                            // 000000008278: BF108080
	s_setvskip s20, 4                                          // 00000000827C: BF108414
	global_atomic_pk_add_bf16 v104, v72, s[8:9]                // 000000008280: DD488000 00084868
	s_setvskip 0, 0                                            // 000000008288: BF108080
	s_setvskip s20, 4                                          // 00000000828C: BF108414
	global_atomic_pk_add_bf16 v104, v73, s[8:9] offset:256     // 000000008290: DD488100 00084968
	s_setvskip 0, 0                                            // 000000008298: BF108080
	s_setvskip s20, 5                                          // 00000000829C: BF108514
	global_atomic_pk_add_bf16 v106, v74, s[8:9]                // 0000000082A0: DD488000 00084A6A
	s_setvskip 0, 0                                            // 0000000082A8: BF108080
	s_setvskip s20, 5                                          // 0000000082AC: BF108514
	global_atomic_pk_add_bf16 v106, v75, s[8:9] offset:256     // 0000000082B0: DD488100 00084B6A
	s_setvskip 0, 0                                            // 0000000082B8: BF108080
	s_setvskip s20, 6                                          // 0000000082BC: BF108614
	global_atomic_pk_add_bf16 v108, v76, s[8:9]                // 0000000082C0: DD488000 00084C6C
	s_setvskip 0, 0                                            // 0000000082C8: BF108080
	s_setvskip s20, 6                                          // 0000000082CC: BF108614
	global_atomic_pk_add_bf16 v108, v77, s[8:9] offset:256     // 0000000082D0: DD488100 00084D6C
	s_setvskip 0, 0                                            // 0000000082D8: BF108080
	s_setvskip s20, 7                                          // 0000000082DC: BF108714
	global_atomic_pk_add_bf16 v110, v78, s[8:9]                // 0000000082E0: DD488000 00084E6E
	s_setvskip 0, 0                                            // 0000000082E8: BF108080
	s_setvskip s20, 7                                          // 0000000082EC: BF108714
	global_atomic_pk_add_bf16 v110, v79, s[8:9] offset:256     // 0000000082F0: DD488100 00084F6E
	s_setvskip 0, 0                                            // 0000000082F8: BF108080
	s_setvskip s20, 8                                          // 0000000082FC: BF108814
	global_atomic_pk_add_bf16 v112, v80, s[8:9]                // 000000008300: DD488000 00085070
	s_setvskip 0, 0                                            // 000000008308: BF108080
	s_setvskip s20, 8                                          // 00000000830C: BF108814
	global_atomic_pk_add_bf16 v112, v81, s[8:9] offset:256     // 000000008310: DD488100 00085170
	s_setvskip 0, 0                                            // 000000008318: BF108080
	s_setvskip s20, 9                                          // 00000000831C: BF108914
	global_atomic_pk_add_bf16 v114, v82, s[8:9]                // 000000008320: DD488000 00085272
	s_setvskip 0, 0                                            // 000000008328: BF108080
	s_setvskip s20, 9                                          // 00000000832C: BF108914
	global_atomic_pk_add_bf16 v114, v83, s[8:9] offset:256     // 000000008330: DD488100 00085372
	s_setvskip 0, 0                                            // 000000008338: BF108080
	s_setvskip s20, 10                                         // 00000000833C: BF108A14
	global_atomic_pk_add_bf16 v116, v84, s[8:9]                // 000000008340: DD488000 00085474
	s_setvskip 0, 0                                            // 000000008348: BF108080
	s_setvskip s20, 10                                         // 00000000834C: BF108A14
	global_atomic_pk_add_bf16 v116, v85, s[8:9] offset:256     // 000000008350: DD488100 00085574
	s_setvskip 0, 0                                            // 000000008358: BF108080
	s_setvskip s20, 11                                         // 00000000835C: BF108B14
	global_atomic_pk_add_bf16 v118, v86, s[8:9]                // 000000008360: DD488000 00085676
	s_setvskip 0, 0                                            // 000000008368: BF108080
	s_setvskip s20, 11                                         // 00000000836C: BF108B14
	global_atomic_pk_add_bf16 v118, v87, s[8:9] offset:256     // 000000008370: DD488100 00085776
	s_setvskip 0, 0                                            // 000000008378: BF108080
	s_setvskip s20, 12                                         // 00000000837C: BF108C14
	global_atomic_pk_add_bf16 v120, v88, s[8:9]                // 000000008380: DD488000 00085878
	s_setvskip 0, 0                                            // 000000008388: BF108080
	s_setvskip s20, 12                                         // 00000000838C: BF108C14
	global_atomic_pk_add_bf16 v120, v89, s[8:9] offset:256     // 000000008390: DD488100 00085978
	s_setvskip 0, 0                                            // 000000008398: BF108080
	s_setvskip s20, 13                                         // 00000000839C: BF108D14
	global_atomic_pk_add_bf16 v122, v90, s[8:9]                // 0000000083A0: DD488000 00085A7A
	s_setvskip 0, 0                                            // 0000000083A8: BF108080
	s_setvskip s20, 13                                         // 0000000083AC: BF108D14
	global_atomic_pk_add_bf16 v122, v91, s[8:9] offset:256     // 0000000083B0: DD488100 00085B7A
	s_setvskip 0, 0                                            // 0000000083B8: BF108080
	s_setvskip s20, 14                                         // 0000000083BC: BF108E14
	global_atomic_pk_add_bf16 v124, v92, s[8:9]                // 0000000083C0: DD488000 00085C7C
	s_setvskip 0, 0                                            // 0000000083C8: BF108080
	s_setvskip s20, 14                                         // 0000000083CC: BF108E14
	global_atomic_pk_add_bf16 v124, v93, s[8:9] offset:256     // 0000000083D0: DD488100 00085D7C
	s_setvskip 0, 0                                            // 0000000083D8: BF108080
	s_setvskip s20, 15                                         // 0000000083DC: BF108F14
	global_atomic_pk_add_bf16 v126, v94, s[8:9]                // 0000000083E0: DD488000 00085E7E
	s_setvskip 0, 0                                            // 0000000083E8: BF108080
	s_setvskip s20, 15                                         // 0000000083EC: BF108F14
	global_atomic_pk_add_bf16 v126, v95, s[8:9] offset:256     // 0000000083F0: DD488100 00085F7E
	s_setvskip 0, 0                                            // 0000000083F8: BF108080
	s_add_u32 s8, s55, s8                                      // 0000000083FC: 80080837
	s_addc_u32 s9, 0, s9                                       // 000000008400: 82090980
	s_addk_i32 s76, 0x100                                      // 000000008404: B74C0100
	s_cmp_lt_i32 s76, s77                                      // 000000008408: BF044D4C
	s_cbranch_scc0 label_0DC3                                  // 00000000840C: BF84F83F
	s_waitcnt vmcnt(4)                                         // 000000008410: BF8C0F74
	s_barrier                                                  // 000000008414: BF8A0000
	v_mfma_f32_16x16x128_f8f6f4 v[192:195], a[32:39], a[64:71], 0// 000000008418: D3AD00C0 1A028120
	buffer_load_dwordx4 a[0:3], v49, s[12:15], 0 offen         // 000000008420: E05C1000 80830031
	buffer_load_dwordx4 a[4:7], v49, s[12:15], 0 offen offset:1024// 000000008428: E05C1400 80830431
	v_mfma_f32_16x16x128_f8f6f4 v[196:199], a[32:39], a[72:79], 0// 000000008430: D3AD00C4 1A029120
	v_mfma_f32_16x16x128_f8f6f4 v[200:203], a[32:39], a[80:87], 0// 000000008438: D3AD00C8 1A02A120
	buffer_load_dwordx4 a[8:11], v50, s[12:15], 0 offen        // 000000008440: E05C1000 80830832
	buffer_load_dwordx4 a[12:15], v50, s[12:15], 0 offen offset:1024// 000000008448: E05C1400 80830C32
	buffer_load_dword v37, v8, s[16:19], 0 offen               // 000000008450: E0501000 80042508
	v_mfma_f32_16x16x128_f8f6f4 v[204:207], a[32:39], a[88:95], 0// 000000008458: D3AD00CC 1A02B120
	s_waitcnt vmcnt(5)                                         // 000000008460: BF8C0F75
	v_mfma_f32_16x16x128_f8f6f4 v[208:211], a[40:47], a[64:71], 0// 000000008464: D3AD00D0 1A028128
	buffer_load_dwordx4 a[16:19], v51, s[12:15], 0 offen       // 00000000846C: E05C1000 80831033
	buffer_load_dwordx4 a[20:23], v51, s[12:15], 0 offen offset:1024// 000000008474: E05C1400 80831433
	v_mfma_f32_16x16x128_f8f6f4 v[212:215], a[40:47], a[72:79], 0// 00000000847C: D3AD00D4 1A029128
	v_mfma_f32_16x16x128_f8f6f4 v[216:219], a[40:47], a[80:87], 0// 000000008484: D3AD00D8 1A02A128
	buffer_load_dwordx4 a[24:27], v52, s[12:15], 0 offen       // 00000000848C: E05C1000 80831834
	buffer_load_dwordx4 a[28:31], v52, s[12:15], 0 offen offset:1024// 000000008494: E05C1400 80831C34
	v_mfma_f32_16x16x128_f8f6f4 v[220:223], a[40:47], a[88:95], 0// 00000000849C: D3AD00DC 1A02B128
	s_waitcnt vmcnt(5)                                         // 0000000084A4: BF8C0F75
	v_mfma_f32_16x16x128_f8f6f4 v[224:227], a[48:55], a[64:71], 0// 0000000084A8: D3AD00E0 1A028130
	v_mfma_f32_16x16x128_f8f6f4 v[228:231], a[48:55], a[72:79], 0// 0000000084B0: D3AD00E4 1A029130
	v_mfma_f32_16x16x128_f8f6f4 v[232:235], a[48:55], a[80:87], 0// 0000000084B8: D3AD00E8 1A02A130
	v_mfma_f32_16x16x128_f8f6f4 v[236:239], a[48:55], a[88:95], 0// 0000000084C0: D3AD00EC 1A02B130
	s_waitcnt vmcnt(5)                                         // 0000000084C8: BF8C0F75
	v_mfma_f32_16x16x128_f8f6f4 v[240:243], a[56:63], a[64:71], 0// 0000000084CC: D3AD00F0 1A028138
	v_mfma_f32_16x16x128_f8f6f4 v[244:247], a[56:63], a[72:79], 0// 0000000084D4: D3AD00F4 1A029138
	v_mfma_f32_16x16x128_f8f6f4 v[248:251], a[56:63], a[80:87], 0// 0000000084DC: D3AD00F8 1A02A138
	v_mfma_f32_16x16x128_f8f6f4 v[252:255], a[56:63], a[88:95], 0// 0000000084E4: D3AD00FC 1A02B138
	v_mul_f32_dpp v58, v38, v21 row_newbcast:0 row_mask:0xf bank_mask:0xf// 0000000084EC: 0A742AFA FF015026
	v_mov_b32_e32 v59, v58                                     // 0000000084F4: 7E76033A
	v_pk_mul_f32 v[192:193], v[58:59], v[192:193]              // 0000000084F8: D3B140C0 1803813A
	v_pk_mul_f32 v[194:195], v[58:59], v[194:195]              // 000000008500: D3B140C2 1803853A
	v_pk_mul_f32 v[208:209], v[58:59], v[208:209]              // 000000008508: D3B140D0 1803A13A
	v_pk_mul_f32 v[210:211], v[58:59], v[210:211]              // 000000008510: D3B140D2 1803A53A
	v_mul_f32_dpp v58, v38, v21 row_newbcast:1 row_mask:0xf bank_mask:0xf// 000000008518: 0A742AFA FF015126
	v_mov_b32_e32 v59, v58                                     // 000000008520: 7E76033A
	v_pk_mul_f32 v[224:225], v[58:59], v[224:225]              // 000000008524: D3B140E0 1803C13A
	v_pk_mul_f32 v[226:227], v[58:59], v[226:227]              // 00000000852C: D3B140E2 1803C53A
	v_pk_mul_f32 v[240:241], v[58:59], v[240:241]              // 000000008534: D3B140F0 1803E13A
	v_pk_mul_f32 v[242:243], v[58:59], v[242:243]              // 00000000853C: D3B140F2 1803E53A
	v_mul_f32_dpp v58, v38, v22 row_newbcast:0 row_mask:0xf bank_mask:0xf// 000000008544: 0A742CFA FF015026
	v_mov_b32_e32 v59, v58                                     // 00000000854C: 7E76033A
	v_pk_mul_f32 v[196:197], v[58:59], v[196:197]              // 000000008550: D3B140C4 1803893A
	v_pk_mul_f32 v[198:199], v[58:59], v[198:199]              // 000000008558: D3B140C6 18038D3A
	v_pk_mul_f32 v[212:213], v[58:59], v[212:213]              // 000000008560: D3B140D4 1803A93A
	v_pk_mul_f32 v[214:215], v[58:59], v[214:215]              // 000000008568: D3B140D6 1803AD3A
	v_mul_f32_dpp v58, v38, v22 row_newbcast:1 row_mask:0xf bank_mask:0xf// 000000008570: 0A742CFA FF015126
	v_mov_b32_e32 v59, v58                                     // 000000008578: 7E76033A
	v_pk_mul_f32 v[228:229], v[58:59], v[228:229]              // 00000000857C: D3B140E4 1803C93A
	v_pk_mul_f32 v[230:231], v[58:59], v[230:231]              // 000000008584: D3B140E6 1803CD3A
	v_pk_mul_f32 v[244:245], v[58:59], v[244:245]              // 00000000858C: D3B140F4 1803E93A
	v_pk_mul_f32 v[246:247], v[58:59], v[246:247]              // 000000008594: D3B140F6 1803ED3A
	v_mul_f32_dpp v58, v38, v23 row_newbcast:0 row_mask:0xf bank_mask:0xf// 00000000859C: 0A742EFA FF015026
	v_mov_b32_e32 v59, v58                                     // 0000000085A4: 7E76033A
	v_pk_mul_f32 v[200:201], v[58:59], v[200:201]              // 0000000085A8: D3B140C8 1803913A
	v_pk_mul_f32 v[202:203], v[58:59], v[202:203]              // 0000000085B0: D3B140CA 1803953A
	v_pk_mul_f32 v[216:217], v[58:59], v[216:217]              // 0000000085B8: D3B140D8 1803B13A
	v_pk_mul_f32 v[218:219], v[58:59], v[218:219]              // 0000000085C0: D3B140DA 1803B53A
	v_mul_f32_dpp v58, v38, v23 row_newbcast:1 row_mask:0xf bank_mask:0xf// 0000000085C8: 0A742EFA FF015126
	v_mov_b32_e32 v59, v58                                     // 0000000085D0: 7E76033A
	v_pk_mul_f32 v[232:233], v[58:59], v[232:233]              // 0000000085D4: D3B140E8 1803D13A
	v_pk_mul_f32 v[234:235], v[58:59], v[234:235]              // 0000000085DC: D3B140EA 1803D53A
	v_pk_mul_f32 v[248:249], v[58:59], v[248:249]              // 0000000085E4: D3B140F8 1803F13A
	v_pk_mul_f32 v[250:251], v[58:59], v[250:251]              // 0000000085EC: D3B140FA 1803F53A
	v_mul_f32_dpp v58, v38, v24 row_newbcast:0 row_mask:0xf bank_mask:0xf// 0000000085F4: 0A7430FA FF015026
	v_mov_b32_e32 v59, v58                                     // 0000000085FC: 7E76033A
	v_pk_mul_f32 v[204:205], v[58:59], v[204:205]              // 000000008600: D3B140CC 1803993A
	v_pk_mul_f32 v[206:207], v[58:59], v[206:207]              // 000000008608: D3B140CE 18039D3A
	v_pk_mul_f32 v[220:221], v[58:59], v[220:221]              // 000000008610: D3B140DC 1803B93A
	v_pk_mul_f32 v[222:223], v[58:59], v[222:223]              // 000000008618: D3B140DE 1803BD3A
	v_mul_f32_dpp v58, v38, v24 row_newbcast:1 row_mask:0xf bank_mask:0xf// 000000008620: 0A7430FA FF015126
	v_mov_b32_e32 v59, v58                                     // 000000008628: 7E76033A
	v_pk_mul_f32 v[236:237], v[58:59], v[236:237]              // 00000000862C: D3B140EC 1803D93A
	v_pk_mul_f32 v[238:239], v[58:59], v[238:239]              // 000000008634: D3B140EE 1803DD3A
	v_pk_mul_f32 v[252:253], v[58:59], v[252:253]              // 00000000863C: D3B140FC 1803F93A
	v_pk_mul_f32 v[254:255], v[58:59], v[254:255]              // 000000008644: D3B140FE 1803FD3A
	s_add_u32 s56, 0x200, s76                                  // 00000000864C: 80384CFF 00000200
	s_cmp_lt_u32 s56, s77                                      // 000000008654: BF0A4D38
	s_cselect_b32 s52, s52, 0                                  // 000000008658: 85348034
	s_cselect_b32 s74, s74, 0                                  // 00000000865C: 854A804A
	s_cselect_b32 s75, s75, 0                                  // 000000008660: 854B804B
	s_add_u32 s12, s52, s12                                    // 000000008664: 800C0C34
	s_addc_u32 s13, 0, s13                                     // 000000008668: 820D0D80
	s_add_u32 s16, s75, s16                                    // 00000000866C: 8010104B
	s_addc_u32 s17, 0, s17                                     // 000000008670: 82111180
	v_mov_b32_e32 v58, v39                                     // 000000008674: 7E740327
	v_mov_b32_e32 v59, v39                                     // 000000008678: 7E760327
	v_pk_mul_f32 v[192:193], v[58:59], v[192:193]              // 00000000867C: D3B140C0 1803813A
	v_pk_mul_f32 v[194:195], v[58:59], v[194:195]              // 000000008684: D3B140C2 1803853A
	v_pk_mul_f32 v[208:209], v[58:59], v[208:209]              // 00000000868C: D3B140D0 1803A13A
	v_pk_mul_f32 v[210:211], v[58:59], v[210:211]              // 000000008694: D3B140D2 1803A53A
	v_pk_mul_f32 v[224:225], v[58:59], v[224:225]              // 00000000869C: D3B140E0 1803C13A
	v_pk_mul_f32 v[226:227], v[58:59], v[226:227]              // 0000000086A4: D3B140E2 1803C53A
	v_pk_mul_f32 v[240:241], v[58:59], v[240:241]              // 0000000086AC: D3B140F0 1803E13A
	v_pk_mul_f32 v[242:243], v[58:59], v[242:243]              // 0000000086B4: D3B140F2 1803E53A
	v_mov_b32_e32 v58, v40                                     // 0000000086BC: 7E740328
	v_mov_b32_e32 v59, v40                                     // 0000000086C0: 7E760328
	v_pk_mul_f32 v[196:197], v[58:59], v[196:197]              // 0000000086C4: D3B140C4 1803893A
	v_pk_mul_f32 v[198:199], v[58:59], v[198:199]              // 0000000086CC: D3B140C6 18038D3A
	v_pk_mul_f32 v[212:213], v[58:59], v[212:213]              // 0000000086D4: D3B140D4 1803A93A
	v_pk_mul_f32 v[214:215], v[58:59], v[214:215]              // 0000000086DC: D3B140D6 1803AD3A
	v_pk_mul_f32 v[228:229], v[58:59], v[228:229]              // 0000000086E4: D3B140E4 1803C93A
	v_pk_mul_f32 v[230:231], v[58:59], v[230:231]              // 0000000086EC: D3B140E6 1803CD3A
	v_pk_mul_f32 v[244:245], v[58:59], v[244:245]              // 0000000086F4: D3B140F4 1803E93A
	v_pk_mul_f32 v[246:247], v[58:59], v[246:247]              // 0000000086FC: D3B140F6 1803ED3A
	v_mov_b32_e32 v58, v41                                     // 000000008704: 7E740329
	v_mov_b32_e32 v59, v41                                     // 000000008708: 7E760329
	v_pk_mul_f32 v[200:201], v[58:59], v[200:201]              // 00000000870C: D3B140C8 1803913A
	v_pk_mul_f32 v[202:203], v[58:59], v[202:203]              // 000000008714: D3B140CA 1803953A
	v_pk_mul_f32 v[216:217], v[58:59], v[216:217]              // 00000000871C: D3B140D8 1803B13A
	v_pk_mul_f32 v[218:219], v[58:59], v[218:219]              // 000000008724: D3B140DA 1803B53A
	v_pk_mul_f32 v[232:233], v[58:59], v[232:233]              // 00000000872C: D3B140E8 1803D13A
	v_pk_mul_f32 v[234:235], v[58:59], v[234:235]              // 000000008734: D3B140EA 1803D53A
	v_pk_mul_f32 v[248:249], v[58:59], v[248:249]              // 00000000873C: D3B140F8 1803F13A
	v_pk_mul_f32 v[250:251], v[58:59], v[250:251]              // 000000008744: D3B140FA 1803F53A
	v_mov_b32_e32 v58, v42                                     // 00000000874C: 7E74032A
	v_mov_b32_e32 v59, v42                                     // 000000008750: 7E76032A
	v_pk_mul_f32 v[204:205], v[58:59], v[204:205]              // 000000008754: D3B140CC 1803993A
	v_pk_mul_f32 v[206:207], v[58:59], v[206:207]              // 00000000875C: D3B140CE 18039D3A
	v_pk_mul_f32 v[220:221], v[58:59], v[220:221]              // 000000008764: D3B140DC 1803B93A
	v_pk_mul_f32 v[222:223], v[58:59], v[222:223]              // 00000000876C: D3B140DE 1803BD3A
	v_pk_mul_f32 v[236:237], v[58:59], v[236:237]              // 000000008774: D3B140EC 1803D93A
	v_pk_mul_f32 v[238:239], v[58:59], v[238:239]              // 00000000877C: D3B140EE 1803DD3A
	v_pk_mul_f32 v[252:253], v[58:59], v[252:253]              // 000000008784: D3B140FC 1803F93A
	v_pk_mul_f32 v[254:255], v[58:59], v[254:255]              // 00000000878C: D3B140FE 1803FD3A
	v_cvt_pk_bf16_f32 v192, v192, v193                         // 000000008794: D26800C0 000383C0
	v_cvt_pk_bf16_f32 v193, v194, v195                         // 00000000879C: D26800C1 000387C2
	v_cvt_pk_bf16_f32 v194, v196, v197                         // 0000000087A4: D26800C2 00038BC4
	v_cvt_pk_bf16_f32 v195, v198, v199                         // 0000000087AC: D26800C3 00038FC6
	v_cvt_pk_bf16_f32 v196, v200, v201                         // 0000000087B4: D26800C4 000393C8
	v_cvt_pk_bf16_f32 v197, v202, v203                         // 0000000087BC: D26800C5 000397CA
	v_cvt_pk_bf16_f32 v198, v204, v205                         // 0000000087C4: D26800C6 00039BCC
	v_cvt_pk_bf16_f32 v199, v206, v207                         // 0000000087CC: D26800C7 00039FCE
	v_cvt_pk_bf16_f32 v200, v208, v209                         // 0000000087D4: D26800C8 0003A3D0
	v_cvt_pk_bf16_f32 v201, v210, v211                         // 0000000087DC: D26800C9 0003A7D2
	v_cvt_pk_bf16_f32 v202, v212, v213                         // 0000000087E4: D26800CA 0003ABD4
	v_cvt_pk_bf16_f32 v203, v214, v215                         // 0000000087EC: D26800CB 0003AFD6
	v_cvt_pk_bf16_f32 v204, v216, v217                         // 0000000087F4: D26800CC 0003B3D8
	v_cvt_pk_bf16_f32 v205, v218, v219                         // 0000000087FC: D26800CD 0003B7DA
	v_cvt_pk_bf16_f32 v206, v220, v221                         // 000000008804: D26800CE 0003BBDC
	v_cvt_pk_bf16_f32 v207, v222, v223                         // 00000000880C: D26800CF 0003BFDE
	v_cvt_pk_bf16_f32 v208, v224, v225                         // 000000008814: D26800D0 0003C3E0
	v_cvt_pk_bf16_f32 v209, v226, v227                         // 00000000881C: D26800D1 0003C7E2
	v_cvt_pk_bf16_f32 v210, v228, v229                         // 000000008824: D26800D2 0003CBE4
	v_cvt_pk_bf16_f32 v211, v230, v231                         // 00000000882C: D26800D3 0003CFE6
	v_cvt_pk_bf16_f32 v212, v232, v233                         // 000000008834: D26800D4 0003D3E8
	v_cvt_pk_bf16_f32 v213, v234, v235                         // 00000000883C: D26800D5 0003D7EA
	v_cvt_pk_bf16_f32 v214, v236, v237                         // 000000008844: D26800D6 0003DBEC
	v_cvt_pk_bf16_f32 v215, v238, v239                         // 00000000884C: D26800D7 0003DFEE
	v_cvt_pk_bf16_f32 v216, v240, v241                         // 000000008854: D26800D8 0003E3F0
	v_cvt_pk_bf16_f32 v217, v242, v243                         // 00000000885C: D26800D9 0003E7F2
	v_cvt_pk_bf16_f32 v218, v244, v245                         // 000000008864: D26800DA 0003EBF4
	v_cvt_pk_bf16_f32 v219, v246, v247                         // 00000000886C: D26800DB 0003EFF6
	v_cvt_pk_bf16_f32 v220, v248, v249                         // 000000008874: D26800DC 0003F3F8
	v_cvt_pk_bf16_f32 v221, v250, v251                         // 00000000887C: D26800DD 0003F7FA
	v_cvt_pk_bf16_f32 v222, v252, v253                         // 000000008884: D26800DE 0003FBFC
	v_cvt_pk_bf16_f32 v223, v254, v255                         // 00000000888C: D26800DF 0003FFFE
	ds_write_b64 v4, v[192:193]                                // 000000008894: D89A0000 0000C004
	ds_write_b64 v4, v[194:195] offset:8704                    // 00000000889C: D89A2200 0000C204
	ds_write_b64 v5, v[196:197]                                // 0000000088A4: D89A0000 0000C405
	ds_write_b64 v5, v[198:199] offset:8704                    // 0000000088AC: D89A2200 0000C605
	ds_write_b64 v4, v[200:201] offset:2176                    // 0000000088B4: D89A0880 0000C804
	ds_write_b64 v4, v[202:203] offset:10880                   // 0000000088BC: D89A2A80 0000CA04
	ds_write_b64 v5, v[204:205] offset:2176                    // 0000000088C4: D89A0880 0000CC05
	ds_write_b64 v5, v[206:207] offset:10880                   // 0000000088CC: D89A2A80 0000CE05
	ds_write_b64 v4, v[208:209] offset:4352                    // 0000000088D4: D89A1100 0000D004
	ds_write_b64 v4, v[210:211] offset:13056                   // 0000000088DC: D89A3300 0000D204
	ds_write_b64 v5, v[212:213] offset:4352                    // 0000000088E4: D89A1100 0000D405
	ds_write_b64 v5, v[214:215] offset:13056                   // 0000000088EC: D89A3300 0000D605
	ds_write_b64 v4, v[216:217] offset:6528                    // 0000000088F4: D89A1980 0000D804
	ds_write_b64 v4, v[218:219] offset:15232                   // 0000000088FC: D89A3B80 0000DA04
	ds_write_b64 v5, v[220:221] offset:6528                    // 000000008904: D89A1980 0000DC05
	ds_write_b64 v5, v[222:223] offset:15232                   // 00000000890C: D89A3B80 0000DE05
	s_waitcnt lgkmcnt(0)                                       // 000000008914: BF8CC07F
	s_barrier                                                  // 000000008918: BF8A0000
	ds_read_b32 v64, v6                                        // 00000000891C: D86C0000 40000006
	ds_read_b32 v65, v6 offset:4352                            // 000000008924: D86C1100 41000006
	ds_read_b32 v66, v6 offset:8                               // 00000000892C: D86C0008 42000006
	ds_read_b32 v67, v6 offset:4360                            // 000000008934: D86C1108 43000006
	ds_read_b32 v68, v6 offset:32                              // 00000000893C: D86C0020 44000006
	ds_read_b32 v69, v6 offset:4384                            // 000000008944: D86C1120 45000006
	ds_read_b32 v70, v6 offset:40                              // 00000000894C: D86C0028 46000006
	ds_read_b32 v71, v6 offset:4392                            // 000000008954: D86C1128 47000006
	ds_read_b32 v72, v6 offset:8704                            // 00000000895C: D86C2200 48000006
	ds_read_b32 v73, v6 offset:13056                           // 000000008964: D86C3300 49000006
	ds_read_b32 v74, v6 offset:8712                            // 00000000896C: D86C2208 4A000006
	ds_read_b32 v75, v6 offset:13064                           // 000000008974: D86C3308 4B000006
	ds_read_b32 v76, v6 offset:8736                            // 00000000897C: D86C2220 4C000006
	ds_read_b32 v77, v6 offset:13088                           // 000000008984: D86C3320 4D000006
	ds_read_b32 v78, v6 offset:8744                            // 00000000898C: D86C2228 4E000006
	ds_read_b32 v79, v6 offset:13096                           // 000000008994: D86C3328 4F000006
	ds_read_b32 v80, v7                                        // 00000000899C: D86C0000 50000007
	ds_read_b32 v81, v7 offset:4352                            // 0000000089A4: D86C1100 51000007
	ds_read_b32 v82, v7 offset:8                               // 0000000089AC: D86C0008 52000007
	ds_read_b32 v83, v7 offset:4360                            // 0000000089B4: D86C1108 53000007
	ds_read_b32 v84, v7 offset:32                              // 0000000089BC: D86C0020 54000007
	ds_read_b32 v85, v7 offset:4384                            // 0000000089C4: D86C1120 55000007
	ds_read_b32 v86, v7 offset:40                              // 0000000089CC: D86C0028 56000007
	ds_read_b32 v87, v7 offset:4392                            // 0000000089D4: D86C1128 57000007
	ds_read_b32 v88, v7 offset:8704                            // 0000000089DC: D86C2200 58000007
	ds_read_b32 v89, v7 offset:13056                           // 0000000089E4: D86C3300 59000007
	ds_read_b32 v90, v7 offset:8712                            // 0000000089EC: D86C2208 5A000007
	ds_read_b32 v91, v7 offset:13064                           // 0000000089F4: D86C3308 5B000007
	ds_read_b32 v92, v7 offset:8736                            // 0000000089FC: D86C2220 5C000007
	ds_read_b32 v93, v7 offset:13088                           // 000000008A04: D86C3320 5D000007
	ds_read_b32 v94, v7 offset:8744                            // 000000008A0C: D86C2228 5E000007
	ds_read_b32 v95, v7 offset:13096                           // 000000008A14: D86C3328 5F000007
	s_waitcnt lgkmcnt(0)                                       // 000000008A1C: BF8CC07F
	s_setvskip s20, 0                                          // 000000008A20: BF108014
	global_atomic_pk_add_bf16 v96, v64, s[8:9]                 // 000000008A24: DD488000 00084060
	s_setvskip 0, 0                                            // 000000008A2C: BF108080
	s_setvskip s20, 0                                          // 000000008A30: BF108014
	global_atomic_pk_add_bf16 v96, v65, s[8:9] offset:256      // 000000008A34: DD488100 00084160
	s_setvskip 0, 0                                            // 000000008A3C: BF108080
	s_setvskip s20, 1                                          // 000000008A40: BF108114
	global_atomic_pk_add_bf16 v98, v66, s[8:9]                 // 000000008A44: DD488000 00084262
	s_setvskip 0, 0                                            // 000000008A4C: BF108080
	s_setvskip s20, 1                                          // 000000008A50: BF108114
	global_atomic_pk_add_bf16 v98, v67, s[8:9] offset:256      // 000000008A54: DD488100 00084362
	s_setvskip 0, 0                                            // 000000008A5C: BF108080
	s_setvskip s20, 2                                          // 000000008A60: BF108214
	global_atomic_pk_add_bf16 v100, v68, s[8:9]                // 000000008A64: DD488000 00084464
	s_setvskip 0, 0                                            // 000000008A6C: BF108080
	s_setvskip s20, 2                                          // 000000008A70: BF108214
	global_atomic_pk_add_bf16 v100, v69, s[8:9] offset:256     // 000000008A74: DD488100 00084564
	s_setvskip 0, 0                                            // 000000008A7C: BF108080
	s_setvskip s20, 3                                          // 000000008A80: BF108314
	global_atomic_pk_add_bf16 v102, v70, s[8:9]                // 000000008A84: DD488000 00084666
	s_setvskip 0, 0                                            // 000000008A8C: BF108080
	s_setvskip s20, 3                                          // 000000008A90: BF108314
	global_atomic_pk_add_bf16 v102, v71, s[8:9] offset:256     // 000000008A94: DD488100 00084766
	s_setvskip 0, 0                                            // 000000008A9C: BF108080
	s_setvskip s20, 4                                          // 000000008AA0: BF108414
	global_atomic_pk_add_bf16 v104, v72, s[8:9]                // 000000008AA4: DD488000 00084868
	s_setvskip 0, 0                                            // 000000008AAC: BF108080
	s_setvskip s20, 4                                          // 000000008AB0: BF108414
	global_atomic_pk_add_bf16 v104, v73, s[8:9] offset:256     // 000000008AB4: DD488100 00084968
	s_setvskip 0, 0                                            // 000000008ABC: BF108080
	s_setvskip s20, 5                                          // 000000008AC0: BF108514
	global_atomic_pk_add_bf16 v106, v74, s[8:9]                // 000000008AC4: DD488000 00084A6A
	s_setvskip 0, 0                                            // 000000008ACC: BF108080
	s_setvskip s20, 5                                          // 000000008AD0: BF108514
	global_atomic_pk_add_bf16 v106, v75, s[8:9] offset:256     // 000000008AD4: DD488100 00084B6A
	s_setvskip 0, 0                                            // 000000008ADC: BF108080
	s_setvskip s20, 6                                          // 000000008AE0: BF108614
	global_atomic_pk_add_bf16 v108, v76, s[8:9]                // 000000008AE4: DD488000 00084C6C
	s_setvskip 0, 0                                            // 000000008AEC: BF108080
	s_setvskip s20, 6                                          // 000000008AF0: BF108614
	global_atomic_pk_add_bf16 v108, v77, s[8:9] offset:256     // 000000008AF4: DD488100 00084D6C
	s_setvskip 0, 0                                            // 000000008AFC: BF108080
	s_setvskip s20, 7                                          // 000000008B00: BF108714
	global_atomic_pk_add_bf16 v110, v78, s[8:9]                // 000000008B04: DD488000 00084E6E
	s_setvskip 0, 0                                            // 000000008B0C: BF108080
	s_setvskip s20, 7                                          // 000000008B10: BF108714
	global_atomic_pk_add_bf16 v110, v79, s[8:9] offset:256     // 000000008B14: DD488100 00084F6E
	s_setvskip 0, 0                                            // 000000008B1C: BF108080
	s_setvskip s20, 8                                          // 000000008B20: BF108814
	global_atomic_pk_add_bf16 v112, v80, s[8:9]                // 000000008B24: DD488000 00085070
	s_setvskip 0, 0                                            // 000000008B2C: BF108080
	s_setvskip s20, 8                                          // 000000008B30: BF108814
	global_atomic_pk_add_bf16 v112, v81, s[8:9] offset:256     // 000000008B34: DD488100 00085170
	s_setvskip 0, 0                                            // 000000008B3C: BF108080
	s_setvskip s20, 9                                          // 000000008B40: BF108914
	global_atomic_pk_add_bf16 v114, v82, s[8:9]                // 000000008B44: DD488000 00085272
	s_setvskip 0, 0                                            // 000000008B4C: BF108080
	s_setvskip s20, 9                                          // 000000008B50: BF108914
	global_atomic_pk_add_bf16 v114, v83, s[8:9] offset:256     // 000000008B54: DD488100 00085372
	s_setvskip 0, 0                                            // 000000008B5C: BF108080
	s_setvskip s20, 10                                         // 000000008B60: BF108A14
	global_atomic_pk_add_bf16 v116, v84, s[8:9]                // 000000008B64: DD488000 00085474
	s_setvskip 0, 0                                            // 000000008B6C: BF108080
	s_setvskip s20, 10                                         // 000000008B70: BF108A14
	global_atomic_pk_add_bf16 v116, v85, s[8:9] offset:256     // 000000008B74: DD488100 00085574
	s_setvskip 0, 0                                            // 000000008B7C: BF108080
	s_setvskip s20, 11                                         // 000000008B80: BF108B14
	global_atomic_pk_add_bf16 v118, v86, s[8:9]                // 000000008B84: DD488000 00085676
	s_setvskip 0, 0                                            // 000000008B8C: BF108080
	s_setvskip s20, 11                                         // 000000008B90: BF108B14
	global_atomic_pk_add_bf16 v118, v87, s[8:9] offset:256     // 000000008B94: DD488100 00085776
	s_setvskip 0, 0                                            // 000000008B9C: BF108080
	s_setvskip s20, 12                                         // 000000008BA0: BF108C14
	global_atomic_pk_add_bf16 v120, v88, s[8:9]                // 000000008BA4: DD488000 00085878
	s_setvskip 0, 0                                            // 000000008BAC: BF108080
	s_setvskip s20, 12                                         // 000000008BB0: BF108C14
	global_atomic_pk_add_bf16 v120, v89, s[8:9] offset:256     // 000000008BB4: DD488100 00085978
	s_setvskip 0, 0                                            // 000000008BBC: BF108080
	s_setvskip s20, 13                                         // 000000008BC0: BF108D14
	global_atomic_pk_add_bf16 v122, v90, s[8:9]                // 000000008BC4: DD488000 00085A7A
	s_setvskip 0, 0                                            // 000000008BCC: BF108080
	s_setvskip s20, 13                                         // 000000008BD0: BF108D14
	global_atomic_pk_add_bf16 v122, v91, s[8:9] offset:256     // 000000008BD4: DD488100 00085B7A
	s_setvskip 0, 0                                            // 000000008BDC: BF108080
	s_setvskip s20, 14                                         // 000000008BE0: BF108E14
	global_atomic_pk_add_bf16 v124, v92, s[8:9]                // 000000008BE4: DD488000 00085C7C
	s_setvskip 0, 0                                            // 000000008BEC: BF108080
	s_setvskip s20, 14                                         // 000000008BF0: BF108E14
	global_atomic_pk_add_bf16 v124, v93, s[8:9] offset:256     // 000000008BF4: DD488100 00085D7C
	s_setvskip 0, 0                                            // 000000008BFC: BF108080
	s_setvskip s20, 15                                         // 000000008C00: BF108F14
	global_atomic_pk_add_bf16 v126, v94, s[8:9]                // 000000008C04: DD488000 00085E7E
	s_setvskip 0, 0                                            // 000000008C0C: BF108080
	s_setvskip s20, 15                                         // 000000008C10: BF108F14
	global_atomic_pk_add_bf16 v126, v95, s[8:9] offset:256     // 000000008C14: DD488100 00085F7E
	s_setvskip 0, 0                                            // 000000008C1C: BF108080
	s_add_u32 s8, s55, s8                                      // 000000008C20: 80080837
	s_addc_u32 s9, 0, s9                                       // 000000008C24: 82090980
	s_addk_i32 s76, 0x100                                      // 000000008C28: B74C0100
	s_cmp_lt_i32 s76, s77                                      // 000000008C2C: BF044D4C
	s_cbranch_scc0 label_0DC3                                  // 000000008C30: BF84F636
	s_branch label_137B                                        // 000000008C34: BF82FBED

0000000000008c38 <label_178E>:
	s_waitcnt vmcnt(0) expcnt(0) lgkmcnt(0)                    // 000000008C38: BF8C0000
	s_add_u32 s101, s101, 1                                    // 000000008C3C: 80658165
	s_cmp_eq_u32 s59, 0                                        // 000000008C40: BF06803B
	s_cbranch_scc0 label_0039                                  // 000000008C44: BF84E8A7

0000000000008c48 <label_1792>:
	s_waitcnt vmcnt(0) expcnt(0) lgkmcnt(0)                    // 000000008C48: BF8C0000
	s_endpgm                                                   // 000000008C4C: BF810000
